;; amdgpu-corpus repo=ROCm/rocFFT kind=compiled arch=gfx906 opt=O3
	.text
	.amdgcn_target "amdgcn-amd-amdhsa--gfx906"
	.amdhsa_code_object_version 6
	.protected	fft_rtc_back_len4050_factors_10_5_3_3_3_3_wgs_135_tpt_135_halfLds_sp_ip_CI_sbrr_dirReg ; -- Begin function fft_rtc_back_len4050_factors_10_5_3_3_3_3_wgs_135_tpt_135_halfLds_sp_ip_CI_sbrr_dirReg
	.globl	fft_rtc_back_len4050_factors_10_5_3_3_3_3_wgs_135_tpt_135_halfLds_sp_ip_CI_sbrr_dirReg
	.p2align	8
	.type	fft_rtc_back_len4050_factors_10_5_3_3_3_3_wgs_135_tpt_135_halfLds_sp_ip_CI_sbrr_dirReg,@function
fft_rtc_back_len4050_factors_10_5_3_3_3_3_wgs_135_tpt_135_halfLds_sp_ip_CI_sbrr_dirReg: ; @fft_rtc_back_len4050_factors_10_5_3_3_3_3_wgs_135_tpt_135_halfLds_sp_ip_CI_sbrr_dirReg
; %bb.0:
	s_load_dwordx2 s[14:15], s[4:5], 0x18
	s_load_dwordx4 s[8:11], s[4:5], 0x0
	s_load_dwordx2 s[12:13], s[4:5], 0x50
	v_mul_u32_u24_e32 v1, 0x1e6, v0
	v_add_u32_sdwa v5, s6, v1 dst_sel:DWORD dst_unused:UNUSED_PAD src0_sel:DWORD src1_sel:WORD_1
	s_waitcnt lgkmcnt(0)
	s_load_dwordx2 s[2:3], s[14:15], 0x0
	v_cmp_lt_u64_e64 s[0:1], s[10:11], 2
	v_mov_b32_e32 v3, 0
	v_mov_b32_e32 v1, 0
	;; [unrolled: 1-line block ×3, first 2 shown]
	s_and_b64 vcc, exec, s[0:1]
	v_mov_b32_e32 v2, 0
	s_cbranch_vccnz .LBB0_8
; %bb.1:
	s_load_dwordx2 s[0:1], s[4:5], 0x10
	s_add_u32 s6, s14, 8
	s_addc_u32 s7, s15, 0
	v_mov_b32_e32 v1, 0
	v_mov_b32_e32 v2, 0
	s_waitcnt lgkmcnt(0)
	s_add_u32 s16, s0, 8
	s_addc_u32 s17, s1, 0
	s_mov_b64 s[18:19], 1
.LBB0_2:                                ; =>This Inner Loop Header: Depth=1
	s_load_dwordx2 s[20:21], s[16:17], 0x0
                                        ; implicit-def: $vgpr7_vgpr8
	s_waitcnt lgkmcnt(0)
	v_or_b32_e32 v4, s21, v6
	v_cmp_ne_u64_e32 vcc, 0, v[3:4]
	s_and_saveexec_b64 s[0:1], vcc
	s_xor_b64 s[22:23], exec, s[0:1]
	s_cbranch_execz .LBB0_4
; %bb.3:                                ;   in Loop: Header=BB0_2 Depth=1
	v_cvt_f32_u32_e32 v4, s20
	v_cvt_f32_u32_e32 v7, s21
	s_sub_u32 s0, 0, s20
	s_subb_u32 s1, 0, s21
	v_mac_f32_e32 v4, 0x4f800000, v7
	v_rcp_f32_e32 v4, v4
	v_mul_f32_e32 v4, 0x5f7ffffc, v4
	v_mul_f32_e32 v7, 0x2f800000, v4
	v_trunc_f32_e32 v7, v7
	v_mac_f32_e32 v4, 0xcf800000, v7
	v_cvt_u32_f32_e32 v7, v7
	v_cvt_u32_f32_e32 v4, v4
	v_mul_lo_u32 v8, s0, v7
	v_mul_hi_u32 v9, s0, v4
	v_mul_lo_u32 v11, s1, v4
	v_mul_lo_u32 v10, s0, v4
	v_add_u32_e32 v8, v9, v8
	v_add_u32_e32 v8, v8, v11
	v_mul_hi_u32 v9, v4, v10
	v_mul_lo_u32 v11, v4, v8
	v_mul_hi_u32 v13, v4, v8
	v_mul_hi_u32 v12, v7, v10
	v_mul_lo_u32 v10, v7, v10
	v_mul_hi_u32 v14, v7, v8
	v_add_co_u32_e32 v9, vcc, v9, v11
	v_addc_co_u32_e32 v11, vcc, 0, v13, vcc
	v_mul_lo_u32 v8, v7, v8
	v_add_co_u32_e32 v9, vcc, v9, v10
	v_addc_co_u32_e32 v9, vcc, v11, v12, vcc
	v_addc_co_u32_e32 v10, vcc, 0, v14, vcc
	v_add_co_u32_e32 v8, vcc, v9, v8
	v_addc_co_u32_e32 v9, vcc, 0, v10, vcc
	v_add_co_u32_e32 v4, vcc, v4, v8
	v_addc_co_u32_e32 v7, vcc, v7, v9, vcc
	v_mul_lo_u32 v8, s0, v7
	v_mul_hi_u32 v9, s0, v4
	v_mul_lo_u32 v10, s1, v4
	v_mul_lo_u32 v11, s0, v4
	v_add_u32_e32 v8, v9, v8
	v_add_u32_e32 v8, v8, v10
	v_mul_lo_u32 v12, v4, v8
	v_mul_hi_u32 v13, v4, v11
	v_mul_hi_u32 v14, v4, v8
	;; [unrolled: 1-line block ×3, first 2 shown]
	v_mul_lo_u32 v11, v7, v11
	v_mul_hi_u32 v9, v7, v8
	v_add_co_u32_e32 v12, vcc, v13, v12
	v_addc_co_u32_e32 v13, vcc, 0, v14, vcc
	v_mul_lo_u32 v8, v7, v8
	v_add_co_u32_e32 v11, vcc, v12, v11
	v_addc_co_u32_e32 v10, vcc, v13, v10, vcc
	v_addc_co_u32_e32 v9, vcc, 0, v9, vcc
	v_add_co_u32_e32 v8, vcc, v10, v8
	v_addc_co_u32_e32 v9, vcc, 0, v9, vcc
	v_add_co_u32_e32 v4, vcc, v4, v8
	v_addc_co_u32_e32 v9, vcc, v7, v9, vcc
	v_mad_u64_u32 v[7:8], s[0:1], v5, v9, 0
	v_mul_hi_u32 v10, v5, v4
	v_add_co_u32_e32 v11, vcc, v10, v7
	v_addc_co_u32_e32 v12, vcc, 0, v8, vcc
	v_mad_u64_u32 v[7:8], s[0:1], v6, v4, 0
	v_mad_u64_u32 v[9:10], s[0:1], v6, v9, 0
	v_add_co_u32_e32 v4, vcc, v11, v7
	v_addc_co_u32_e32 v4, vcc, v12, v8, vcc
	v_addc_co_u32_e32 v7, vcc, 0, v10, vcc
	v_add_co_u32_e32 v4, vcc, v4, v9
	v_addc_co_u32_e32 v9, vcc, 0, v7, vcc
	v_mul_lo_u32 v10, s21, v4
	v_mul_lo_u32 v11, s20, v9
	v_mad_u64_u32 v[7:8], s[0:1], s20, v4, 0
	v_add3_u32 v8, v8, v11, v10
	v_sub_u32_e32 v10, v6, v8
	v_mov_b32_e32 v11, s21
	v_sub_co_u32_e32 v7, vcc, v5, v7
	v_subb_co_u32_e64 v10, s[0:1], v10, v11, vcc
	v_subrev_co_u32_e64 v11, s[0:1], s20, v7
	v_subbrev_co_u32_e64 v10, s[0:1], 0, v10, s[0:1]
	v_cmp_le_u32_e64 s[0:1], s21, v10
	v_cndmask_b32_e64 v12, 0, -1, s[0:1]
	v_cmp_le_u32_e64 s[0:1], s20, v11
	v_cndmask_b32_e64 v11, 0, -1, s[0:1]
	v_cmp_eq_u32_e64 s[0:1], s21, v10
	v_cndmask_b32_e64 v10, v12, v11, s[0:1]
	v_add_co_u32_e64 v11, s[0:1], 2, v4
	v_addc_co_u32_e64 v12, s[0:1], 0, v9, s[0:1]
	v_add_co_u32_e64 v13, s[0:1], 1, v4
	v_addc_co_u32_e64 v14, s[0:1], 0, v9, s[0:1]
	v_subb_co_u32_e32 v8, vcc, v6, v8, vcc
	v_cmp_ne_u32_e64 s[0:1], 0, v10
	v_cmp_le_u32_e32 vcc, s21, v8
	v_cndmask_b32_e64 v10, v14, v12, s[0:1]
	v_cndmask_b32_e64 v12, 0, -1, vcc
	v_cmp_le_u32_e32 vcc, s20, v7
	v_cndmask_b32_e64 v7, 0, -1, vcc
	v_cmp_eq_u32_e32 vcc, s21, v8
	v_cndmask_b32_e32 v7, v12, v7, vcc
	v_cmp_ne_u32_e32 vcc, 0, v7
	v_cndmask_b32_e64 v7, v13, v11, s[0:1]
	v_cndmask_b32_e32 v8, v9, v10, vcc
	v_cndmask_b32_e32 v7, v4, v7, vcc
.LBB0_4:                                ;   in Loop: Header=BB0_2 Depth=1
	s_andn2_saveexec_b64 s[0:1], s[22:23]
	s_cbranch_execz .LBB0_6
; %bb.5:                                ;   in Loop: Header=BB0_2 Depth=1
	v_cvt_f32_u32_e32 v4, s20
	s_sub_i32 s22, 0, s20
	v_rcp_iflag_f32_e32 v4, v4
	v_mul_f32_e32 v4, 0x4f7ffffe, v4
	v_cvt_u32_f32_e32 v4, v4
	v_mul_lo_u32 v7, s22, v4
	v_mul_hi_u32 v7, v4, v7
	v_add_u32_e32 v4, v4, v7
	v_mul_hi_u32 v4, v5, v4
	v_mul_lo_u32 v7, v4, s20
	v_add_u32_e32 v8, 1, v4
	v_sub_u32_e32 v7, v5, v7
	v_subrev_u32_e32 v9, s20, v7
	v_cmp_le_u32_e32 vcc, s20, v7
	v_cndmask_b32_e32 v7, v7, v9, vcc
	v_cndmask_b32_e32 v4, v4, v8, vcc
	v_add_u32_e32 v8, 1, v4
	v_cmp_le_u32_e32 vcc, s20, v7
	v_cndmask_b32_e32 v7, v4, v8, vcc
	v_mov_b32_e32 v8, v3
.LBB0_6:                                ;   in Loop: Header=BB0_2 Depth=1
	s_or_b64 exec, exec, s[0:1]
	v_mul_lo_u32 v4, v8, s20
	v_mul_lo_u32 v11, v7, s21
	v_mad_u64_u32 v[9:10], s[0:1], v7, s20, 0
	s_load_dwordx2 s[0:1], s[6:7], 0x0
	s_add_u32 s18, s18, 1
	v_add3_u32 v4, v10, v11, v4
	v_sub_co_u32_e32 v5, vcc, v5, v9
	v_subb_co_u32_e32 v4, vcc, v6, v4, vcc
	s_waitcnt lgkmcnt(0)
	v_mul_lo_u32 v4, s0, v4
	v_mul_lo_u32 v6, s1, v5
	v_mad_u64_u32 v[1:2], s[0:1], s0, v5, v[1:2]
	s_addc_u32 s19, s19, 0
	s_add_u32 s6, s6, 8
	v_add3_u32 v2, v6, v2, v4
	v_mov_b32_e32 v4, s10
	v_mov_b32_e32 v5, s11
	s_addc_u32 s7, s7, 0
	v_cmp_ge_u64_e32 vcc, s[18:19], v[4:5]
	s_add_u32 s16, s16, 8
	s_addc_u32 s17, s17, 0
	s_cbranch_vccnz .LBB0_9
; %bb.7:                                ;   in Loop: Header=BB0_2 Depth=1
	v_mov_b32_e32 v5, v7
	v_mov_b32_e32 v6, v8
	s_branch .LBB0_2
.LBB0_8:
	v_mov_b32_e32 v8, v6
	v_mov_b32_e32 v7, v5
.LBB0_9:
	s_lshl_b64 s[0:1], s[10:11], 3
	s_add_u32 s0, s14, s0
	s_addc_u32 s1, s15, s1
	s_load_dwordx2 s[6:7], s[0:1], 0x0
	s_load_dwordx2 s[10:11], s[4:5], 0x20
                                        ; implicit-def: $vgpr67
                                        ; implicit-def: $vgpr70
                                        ; implicit-def: $vgpr64
                                        ; implicit-def: $vgpr63
                                        ; implicit-def: $vgpr65
                                        ; implicit-def: $vgpr69
                                        ; implicit-def: $vgpr68
                                        ; implicit-def: $vgpr71
                                        ; implicit-def: $vgpr66
	s_waitcnt lgkmcnt(0)
	v_mad_u64_u32 v[1:2], s[0:1], s6, v7, v[1:2]
	s_mov_b32 s0, 0x1e573ad
	v_mul_lo_u32 v3, s6, v8
	v_mul_lo_u32 v4, s7, v7
	v_mul_hi_u32 v5, v0, s0
	v_cmp_gt_u64_e32 vcc, s[10:11], v[7:8]
	v_cmp_le_u64_e64 s[0:1], s[10:11], v[7:8]
	v_add3_u32 v2, v4, v2, v3
	v_mul_u32_u24_e32 v3, 0x87, v5
	v_sub_u32_e32 v62, v0, v3
	s_and_saveexec_b64 s[4:5], s[0:1]
	s_xor_b64 s[0:1], exec, s[4:5]
; %bb.10:
	v_add_u32_e32 v67, 0x87, v62
	v_add_u32_e32 v70, 0x10e, v62
	v_add_u32_e32 v64, 0x32a, v62
	v_add_u32_e32 v63, 0x195, v62
	v_add_u32_e32 v65, 0x21c, v62
	v_add_u32_e32 v69, 0x2a3, v62
	v_add_u32_e32 v68, 0x3b1, v62
	v_add_u32_e32 v71, 0x438, v62
	v_add_u32_e32 v66, 0x4bf, v62
; %bb.11:
	s_or_saveexec_b64 s[4:5], s[0:1]
	v_lshlrev_b64 v[20:21], 3, v[1:2]
                                        ; implicit-def: $vgpr9
                                        ; implicit-def: $vgpr11
                                        ; implicit-def: $vgpr5
                                        ; implicit-def: $vgpr13
                                        ; implicit-def: $vgpr7
                                        ; implicit-def: $vgpr19
                                        ; implicit-def: $vgpr57
                                        ; implicit-def: $vgpr15
                                        ; implicit-def: $vgpr3
                                        ; implicit-def: $vgpr1
                                        ; implicit-def: $vgpr29
                                        ; implicit-def: $vgpr35
                                        ; implicit-def: $vgpr31
                                        ; implicit-def: $vgpr39
                                        ; implicit-def: $vgpr33
                                        ; implicit-def: $vgpr27
                                        ; implicit-def: $vgpr59
                                        ; implicit-def: $vgpr25
                                        ; implicit-def: $vgpr23
                                        ; implicit-def: $vgpr17
                                        ; implicit-def: $vgpr43
                                        ; implicit-def: $vgpr49
                                        ; implicit-def: $vgpr45
                                        ; implicit-def: $vgpr51
                                        ; implicit-def: $vgpr47
                                        ; implicit-def: $vgpr55
                                        ; implicit-def: $vgpr61
                                        ; implicit-def: $vgpr53
                                        ; implicit-def: $vgpr41
                                        ; implicit-def: $vgpr37
	s_xor_b64 exec, exec, s[4:5]
	s_cbranch_execz .LBB0_13
; %bb.12:
	v_mad_u64_u32 v[0:1], s[0:1], s2, v62, 0
	v_add_u32_e32 v63, 0x195, v62
	v_mad_u64_u32 v[4:5], s[0:1], s2, v63, 0
	v_mad_u64_u32 v[1:2], s[0:1], s3, v62, v[1:2]
	v_mov_b32_e32 v3, s13
	v_add_co_u32_e64 v2, s[0:1], s12, v20
	v_addc_co_u32_e64 v3, s[0:1], v3, v21, s[0:1]
	v_mad_u64_u32 v[5:6], s[0:1], s3, v63, v[5:6]
	v_add_u32_e32 v64, 0x32a, v62
	v_mad_u64_u32 v[6:7], s[0:1], s2, v64, 0
	v_lshlrev_b64 v[0:1], 3, v[0:1]
	v_add_u32_e32 v66, 0x4bf, v62
	v_add_co_u32_e64 v0, s[0:1], v2, v0
	v_addc_co_u32_e64 v1, s[0:1], v3, v1, s[0:1]
	v_mad_u64_u32 v[7:8], s[0:1], s3, v64, v[7:8]
	v_mad_u64_u32 v[8:9], s[0:1], s2, v66, 0
	v_lshlrev_b64 v[4:5], 3, v[4:5]
	v_add_u32_e32 v12, 0x654, v62
	v_add_co_u32_e64 v4, s[0:1], v2, v4
	v_addc_co_u32_e64 v5, s[0:1], v3, v5, s[0:1]
	v_mad_u64_u32 v[9:10], s[0:1], s3, v66, v[9:10]
	;; [unrolled: 6-line block ×7, first 2 shown]
	v_mad_u64_u32 v[23:24], s[0:1], s2, v25, 0
	v_lshlrev_b64 v[16:17], 3, v[16:17]
	v_mov_b32_e32 v19, v22
	v_add_co_u32_e64 v28, s[0:1], v2, v16
	v_addc_co_u32_e64 v29, s[0:1], v3, v17, s[0:1]
	v_lshlrev_b64 v[16:17], 3, v[18:19]
	v_mov_b32_e32 v18, v24
	v_add_u32_e32 v67, 0x87, v62
	v_mad_u64_u32 v[18:19], s[0:1], s3, v25, v[18:19]
	v_mad_u64_u32 v[25:26], s[0:1], s2, v67, 0
	v_add_co_u32_e64 v30, s[0:1], v2, v16
	v_mov_b32_e32 v24, v18
	v_mov_b32_e32 v18, v26
	v_add_u32_e32 v65, 0x21c, v62
	v_addc_co_u32_e64 v31, s[0:1], v3, v17, s[0:1]
	v_lshlrev_b64 v[16:17], 3, v[23:24]
	v_mad_u64_u32 v[18:19], s[0:1], s3, v67, v[18:19]
	v_mad_u64_u32 v[22:23], s[0:1], s2, v65, 0
	v_add_co_u32_e64 v32, s[0:1], v2, v16
	v_mov_b32_e32 v26, v18
	v_mov_b32_e32 v18, v23
	v_add_u32_e32 v68, 0x3b1, v62
	v_addc_co_u32_e64 v33, s[0:1], v3, v17, s[0:1]
	v_lshlrev_b64 v[16:17], 3, v[25:26]
	v_mad_u64_u32 v[18:19], s[0:1], s3, v65, v[18:19]
	v_mad_u64_u32 v[24:25], s[0:1], s2, v68, 0
	v_add_co_u32_e64 v34, s[0:1], v2, v16
	v_mov_b32_e32 v23, v18
	v_mov_b32_e32 v18, v25
	v_addc_co_u32_e64 v35, s[0:1], v3, v17, s[0:1]
	v_mad_u64_u32 v[18:19], s[0:1], s3, v68, v[18:19]
	v_add_u32_e32 v19, 0x546, v62
	v_lshlrev_b64 v[16:17], 3, v[22:23]
	v_mad_u64_u32 v[22:23], s[0:1], s2, v19, 0
	v_add_co_u32_e64 v38, s[0:1], v2, v16
	v_mov_b32_e32 v25, v18
	v_mov_b32_e32 v18, v23
	v_addc_co_u32_e64 v39, s[0:1], v3, v17, s[0:1]
	v_mad_u64_u32 v[18:19], s[0:1], s3, v19, v[18:19]
	v_add_u32_e32 v19, 0x6db, v62
	v_lshlrev_b64 v[16:17], 3, v[24:25]
	;; [unrolled: 8-line block ×7, first 2 shown]
	v_mad_u64_u32 v[22:23], s[0:1], s2, v19, 0
	v_add_co_u32_e64 v80, s[0:1], v2, v16
	v_mov_b32_e32 v25, v18
	v_mov_b32_e32 v18, v23
	v_add_u32_e32 v70, 0x10e, v62
	v_addc_co_u32_e64 v81, s[0:1], v3, v17, s[0:1]
	v_lshlrev_b64 v[16:17], 3, v[24:25]
	v_mad_u64_u32 v[18:19], s[0:1], s3, v19, v[18:19]
	v_mad_u64_u32 v[24:25], s[0:1], s2, v70, 0
	v_add_co_u32_e64 v82, s[0:1], v2, v16
	v_mov_b32_e32 v23, v18
	v_mov_b32_e32 v18, v25
	v_add_u32_e32 v69, 0x2a3, v62
	v_addc_co_u32_e64 v83, s[0:1], v3, v17, s[0:1]
	v_lshlrev_b64 v[16:17], 3, v[22:23]
	v_mad_u64_u32 v[18:19], s[0:1], s3, v70, v[18:19]
	;; [unrolled: 8-line block ×3, first 2 shown]
	v_mad_u64_u32 v[24:25], s[0:1], s2, v71, 0
	v_add_co_u32_e64 v86, s[0:1], v2, v16
	v_mov_b32_e32 v23, v18
	v_mov_b32_e32 v18, v25
	v_addc_co_u32_e64 v87, s[0:1], v3, v17, s[0:1]
	v_mad_u64_u32 v[18:19], s[0:1], s3, v71, v[18:19]
	v_add_u32_e32 v19, 0x5cd, v62
	v_lshlrev_b64 v[16:17], 3, v[22:23]
	v_mad_u64_u32 v[22:23], s[0:1], s2, v19, 0
	v_add_co_u32_e64 v88, s[0:1], v2, v16
	v_mov_b32_e32 v25, v18
	v_mov_b32_e32 v18, v23
	v_addc_co_u32_e64 v89, s[0:1], v3, v17, s[0:1]
	v_mad_u64_u32 v[18:19], s[0:1], s3, v19, v[18:19]
	v_add_u32_e32 v19, 0x762, v62
	v_lshlrev_b64 v[16:17], 3, v[24:25]
	;; [unrolled: 8-line block ×7, first 2 shown]
	v_mad_u64_u32 v[22:23], s[0:1], s2, v19, 0
	v_add_co_u32_e64 v100, s[0:1], v2, v16
	v_mov_b32_e32 v25, v18
	v_mov_b32_e32 v18, v23
	v_addc_co_u32_e64 v101, s[0:1], v3, v17, s[0:1]
	v_mad_u64_u32 v[18:19], s[0:1], s3, v19, v[18:19]
	v_lshlrev_b64 v[16:17], 3, v[24:25]
	v_add_co_u32_e64 v102, s[0:1], v2, v16
	v_mov_b32_e32 v23, v18
	v_addc_co_u32_e64 v103, s[0:1], v3, v17, s[0:1]
	v_lshlrev_b64 v[16:17], 3, v[22:23]
	v_add_co_u32_e64 v104, s[0:1], v2, v16
	v_addc_co_u32_e64 v105, s[0:1], v3, v17, s[0:1]
	global_load_dwordx2 v[36:37], v[0:1], off
	global_load_dwordx2 v[40:41], v[4:5], off
	;; [unrolled: 1-line block ×15, first 2 shown]
                                        ; kill: killed $vgpr28 killed $vgpr29
                                        ; kill: killed $vgpr0 killed $vgpr1
                                        ; kill: killed $vgpr32 killed $vgpr33
                                        ; kill: killed $vgpr10 killed $vgpr11
                                        ; kill: killed $vgpr4 killed $vgpr5
                                        ; kill: killed $vgpr72 killed $vgpr73
                                        ; kill: killed $vgpr34 killed $vgpr35
                                        ; kill: killed $vgpr14 killed $vgpr15
                                        ; kill: killed $vgpr6 killed $vgpr7
                                        ; kill: killed $vgpr38 killed $vgpr39
                                        ; kill: killed $vgpr30 killed $vgpr31
                                        ; kill: killed $vgpr8 killed $vgpr9
                                        ; kill: killed $vgpr56 killed $vgpr57
                                        ; kill: killed $vgpr12 killed $vgpr13
                                        ; kill: killed $vgpr74 killed $vgpr75
	global_load_dwordx2 v[32:33], v[76:77], off
	s_nop 0
	global_load_dwordx2 v[38:39], v[78:79], off
	global_load_dwordx2 v[30:31], v[80:81], off
	;; [unrolled: 1-line block ×14, first 2 shown]
.LBB0_13:
	s_or_b64 exec, exec, s[4:5]
	s_waitcnt vmcnt(23)
	v_add_f32_e32 v72, v50, v54
	v_fma_f32 v76, -0.5, v72, v36
	v_sub_f32_e32 v72, v52, v54
	s_waitcnt vmcnt(21)
	v_sub_f32_e32 v73, v48, v50
	v_add_f32_e32 v79, v73, v72
	v_add_f32_e32 v72, v48, v52
	;; [unrolled: 1-line block ×3, first 2 shown]
	v_fmac_f32_e32 v36, -0.5, v72
	v_sub_f32_e32 v78, v55, v51
	v_mov_b32_e32 v80, v36
	v_sub_f32_e32 v77, v53, v49
	v_fmac_f32_e32 v80, 0x3f737871, v78
	v_sub_f32_e32 v72, v54, v52
	v_sub_f32_e32 v73, v50, v48
	v_fmac_f32_e32 v36, 0xbf737871, v78
	v_fmac_f32_e32 v80, 0xbf167918, v77
	v_add_f32_e32 v72, v73, v72
	v_fmac_f32_e32 v36, 0x3f167918, v77
	v_fmac_f32_e32 v80, 0x3e9e377a, v72
	;; [unrolled: 1-line block ×3, first 2 shown]
	v_add_f32_e32 v72, v44, v46
	v_fma_f32 v74, -0.5, v72, v40
	v_sub_f32_e32 v72, v60, v46
	s_waitcnt vmcnt(20)
	v_sub_f32_e32 v73, v42, v44
	v_add_f32_e32 v81, v73, v72
	v_add_f32_e32 v72, v42, v60
	;; [unrolled: 1-line block ×3, first 2 shown]
	v_fmac_f32_e32 v40, -0.5, v72
	v_sub_f32_e32 v72, v46, v60
	v_sub_f32_e32 v73, v44, v42
	v_add_f32_e32 v73, v73, v72
	v_sub_f32_e32 v82, v47, v45
	v_mov_b32_e32 v72, v40
	v_fmac_f32_e32 v72, 0x3f737871, v82
	v_sub_f32_e32 v83, v61, v43
	v_fmac_f32_e32 v40, 0xbf737871, v82
	v_fmac_f32_e32 v72, 0xbf167918, v83
	;; [unrolled: 1-line block ×5, first 2 shown]
	v_sub_f32_e32 v73, v61, v47
	v_sub_f32_e32 v75, v43, v45
	v_add_f32_e32 v84, v75, v73
	v_add_f32_e32 v73, v45, v47
	;; [unrolled: 1-line block ×3, first 2 shown]
	v_sub_f32_e32 v90, v46, v44
	v_add_f32_e32 v46, v46, v87
	v_fma_f32 v75, -0.5, v73, v41
	v_add_f32_e32 v73, v61, v41
	v_fmac_f32_e32 v41, -0.5, v85
	v_sub_f32_e32 v85, v60, v42
	v_sub_f32_e32 v60, v47, v61
	;; [unrolled: 1-line block ×3, first 2 shown]
	v_add_f32_e32 v44, v44, v46
	v_add_f32_e32 v61, v61, v60
	v_mov_b32_e32 v60, v41
	v_add_f32_e32 v46, v42, v44
	v_mov_b32_e32 v44, v75
	v_fmac_f32_e32 v60, 0xbf737871, v90
	v_fmac_f32_e32 v41, 0x3f737871, v90
	v_mov_b32_e32 v42, v74
	v_fmac_f32_e32 v44, 0x3f737871, v85
	v_fmac_f32_e32 v60, 0x3f167918, v85
	;; [unrolled: 1-line block ×3, first 2 shown]
	v_mov_b32_e32 v91, v76
	v_fmac_f32_e32 v42, 0xbf737871, v83
	v_fmac_f32_e32 v44, 0x3f167918, v90
	;; [unrolled: 1-line block ×5, first 2 shown]
	v_add_f32_e32 v61, v54, v86
	v_fmac_f32_e32 v91, 0xbf737871, v77
	v_fmac_f32_e32 v42, 0xbf167918, v82
	;; [unrolled: 1-line block ×6, first 2 shown]
	v_add_f32_e32 v61, v50, v61
	v_fmac_f32_e32 v91, 0xbf167918, v78
	v_fmac_f32_e32 v42, 0x3e9e377a, v81
	v_mul_f32_e32 v92, 0xbf167918, v44
	v_mul_f32_e32 v93, 0xbf737871, v60
	;; [unrolled: 1-line block ×3, first 2 shown]
	v_fmac_f32_e32 v76, 0x3f167918, v78
	v_fmac_f32_e32 v74, 0x3f167918, v82
	;; [unrolled: 1-line block ×3, first 2 shown]
	v_add_f32_e32 v61, v48, v61
	v_fmac_f32_e32 v91, 0x3e9e377a, v79
	v_fmac_f32_e32 v92, 0x3f4f1bbd, v42
	;; [unrolled: 1-line block ×4, first 2 shown]
	v_mul_u32_u24_e32 v95, 10, v62
	v_fmac_f32_e32 v76, 0x3e9e377a, v79
	v_fmac_f32_e32 v74, 0x3e9e377a, v81
	v_mul_f32_e32 v79, 0xbf167918, v75
	v_add_f32_e32 v86, v46, v61
	v_add_f32_e32 v87, v91, v92
	;; [unrolled: 1-line block ×4, first 2 shown]
	v_lshl_add_u32 v96, v95, 2, 0
	v_fmac_f32_e32 v79, 0xbf4f1bbd, v74
	ds_write2_b64 v96, v[86:87], v[88:89] offset1:1
	v_sub_f32_e32 v86, v91, v92
	v_sub_f32_e32 v87, v80, v93
	;; [unrolled: 1-line block ×3, first 2 shown]
	v_add_f32_e32 v77, v76, v79
	ds_write2_b64 v96, v[77:78], v[86:87] offset0:2 offset1:3
	v_sub_f32_e32 v78, v76, v79
	s_waitcnt vmcnt(15)
	v_sub_f32_e32 v61, v24, v26
	s_waitcnt vmcnt(11)
	v_sub_f32_e32 v76, v34, v38
	v_add_f32_e32 v46, v38, v26
	v_add_f32_e32 v61, v76, v61
	;; [unrolled: 1-line block ×3, first 2 shown]
	v_sub_f32_e32 v77, v36, v94
	v_add_f32_e32 v36, v24, v16
	v_fma_f32 v46, -0.5, v46, v16
	v_fmac_f32_e32 v16, -0.5, v76
	v_sub_f32_e32 v80, v27, v39
	v_mov_b32_e32 v81, v16
	ds_write_b64 v96, v[77:78] offset:32
	v_sub_f32_e32 v76, v26, v24
	v_sub_f32_e32 v77, v38, v34
	v_fmac_f32_e32 v81, 0x3f737871, v80
	v_sub_f32_e32 v82, v25, v35
	v_fmac_f32_e32 v16, 0xbf737871, v80
	v_add_f32_e32 v76, v77, v76
	v_fmac_f32_e32 v81, 0xbf167918, v82
	v_fmac_f32_e32 v16, 0x3f167918, v82
	;; [unrolled: 1-line block ×4, first 2 shown]
	v_sub_f32_e32 v76, v58, v32
	s_waitcnt vmcnt(10)
	v_sub_f32_e32 v77, v28, v30
	v_add_f32_e32 v83, v77, v76
	v_add_f32_e32 v76, v30, v32
	;; [unrolled: 1-line block ×3, first 2 shown]
	v_fma_f32 v84, -0.5, v76, v22
	v_add_f32_e32 v76, v58, v22
	v_fmac_f32_e32 v22, -0.5, v77
	v_sub_f32_e32 v85, v33, v31
	v_mov_b32_e32 v86, v22
	v_sub_f32_e32 v77, v32, v58
	v_sub_f32_e32 v78, v30, v28
	v_fmac_f32_e32 v86, 0x3f737871, v85
	v_sub_f32_e32 v87, v59, v29
	v_fmac_f32_e32 v22, 0xbf737871, v85
	v_add_f32_e32 v77, v78, v77
	v_fmac_f32_e32 v86, 0xbf167918, v87
	v_fmac_f32_e32 v22, 0x3f167918, v87
	;; [unrolled: 1-line block ×4, first 2 shown]
	v_sub_f32_e32 v77, v59, v33
	v_sub_f32_e32 v78, v29, v31
	v_add_f32_e32 v88, v78, v77
	v_add_f32_e32 v77, v31, v33
	v_fma_f32 v93, -0.5, v77, v23
	v_add_f32_e32 v77, v29, v59
	v_add_f32_e32 v97, v59, v23
	v_fmac_f32_e32 v23, -0.5, v77
	v_sub_f32_e32 v89, v58, v28
	v_sub_f32_e32 v58, v33, v59
	;; [unrolled: 1-line block ×3, first 2 shown]
	v_add_f32_e32 v58, v59, v58
	v_sub_f32_e32 v59, v32, v30
	v_mov_b32_e32 v98, v23
	v_mov_b32_e32 v100, v93
	v_fmac_f32_e32 v98, 0xbf737871, v59
	v_fmac_f32_e32 v23, 0x3f737871, v59
	v_mov_b32_e32 v99, v84
	v_fmac_f32_e32 v100, 0x3f737871, v89
	v_fmac_f32_e32 v98, 0x3f167918, v89
	;; [unrolled: 1-line block ×3, first 2 shown]
	v_mov_b32_e32 v90, v46
	v_add_f32_e32 v32, v32, v76
	v_fmac_f32_e32 v99, 0xbf737871, v87
	v_fmac_f32_e32 v100, 0x3f167918, v59
	v_fmac_f32_e32 v98, 0x3e9e377a, v58
	v_fmac_f32_e32 v23, 0x3e9e377a, v58
	v_add_f32_e32 v36, v26, v36
	v_fmac_f32_e32 v90, 0xbf737871, v82
	v_add_f32_e32 v30, v30, v32
	v_fmac_f32_e32 v99, 0xbf167918, v85
	v_fmac_f32_e32 v100, 0x3e9e377a, v88
	v_add_f32_e32 v36, v38, v36
	v_fmac_f32_e32 v90, 0xbf167918, v80
	v_add_f32_e32 v28, v28, v30
	v_fmac_f32_e32 v99, 0x3e9e377a, v83
	v_mul_f32_e32 v30, 0xbf167918, v100
	v_mul_f32_e32 v32, 0xbf737871, v98
	;; [unrolled: 1-line block ×3, first 2 shown]
	v_fmac_f32_e32 v93, 0xbf737871, v89
	v_add_f32_e32 v36, v34, v36
	v_fmac_f32_e32 v90, 0x3e9e377a, v61
	v_fmac_f32_e32 v30, 0x3f4f1bbd, v99
	;; [unrolled: 1-line block ×4, first 2 shown]
	v_mul_i32_i24_e32 v58, 10, v67
	v_fmac_f32_e32 v84, 0x3f737871, v87
	v_fmac_f32_e32 v93, 0xbf167918, v59
	v_add_f32_e32 v76, v28, v36
	v_add_f32_e32 v77, v90, v30
	;; [unrolled: 1-line block ×4, first 2 shown]
	v_lshl_add_u32 v58, v58, 2, 0
	v_fmac_f32_e32 v46, 0x3f737871, v82
	v_fmac_f32_e32 v84, 0x3f167918, v85
	;; [unrolled: 1-line block ×3, first 2 shown]
	ds_write2_b64 v58, v[76:77], v[78:79] offset1:1
	v_sub_f32_e32 v76, v90, v30
	v_fmac_f32_e32 v46, 0x3f167918, v80
	v_fmac_f32_e32 v84, 0x3e9e377a, v83
	v_mul_f32_e32 v30, 0xbf167918, v93
	v_fmac_f32_e32 v46, 0x3e9e377a, v61
	v_fmac_f32_e32 v30, 0xbf4f1bbd, v84
	v_sub_f32_e32 v77, v81, v32
	v_sub_f32_e32 v79, v36, v28
	v_add_f32_e32 v78, v46, v30
	ds_write2_b64 v58, v[78:79], v[76:77] offset0:2 offset1:3
	v_sub_f32_e32 v76, v16, v91
	s_waitcnt vmcnt(5)
	v_sub_f32_e32 v16, v14, v18
	s_waitcnt vmcnt(1)
	v_sub_f32_e32 v28, v10, v12
	v_add_f32_e32 v16, v28, v16
	v_add_f32_e32 v28, v12, v18
	;; [unrolled: 1-line block ×3, first 2 shown]
	v_sub_f32_e32 v77, v46, v30
	v_fma_f32 v28, -0.5, v28, v0
	v_add_f32_e32 v30, v14, v0
	v_fmac_f32_e32 v0, -0.5, v32
	v_sub_f32_e32 v32, v18, v14
	v_sub_f32_e32 v36, v12, v10
	v_add_f32_e32 v32, v36, v32
	v_sub_f32_e32 v36, v19, v13
	v_mov_b32_e32 v46, v0
	v_fmac_f32_e32 v46, 0x3f737871, v36
	v_sub_f32_e32 v59, v15, v11
	v_fmac_f32_e32 v0, 0xbf737871, v36
	v_fmac_f32_e32 v46, 0xbf167918, v59
	;; [unrolled: 1-line block ×5, first 2 shown]
	v_sub_f32_e32 v32, v56, v6
	s_waitcnt vmcnt(0)
	v_sub_f32_e32 v61, v8, v4
	ds_write_b64 v58, v[76:77] offset:32
	v_add_f32_e32 v32, v61, v32
	v_add_f32_e32 v61, v4, v6
	;; [unrolled: 1-line block ×3, first 2 shown]
	v_fma_f32 v80, -0.5, v61, v2
	v_add_f32_e32 v61, v56, v2
	v_fmac_f32_e32 v2, -0.5, v76
	v_sub_f32_e32 v81, v7, v5
	v_mov_b32_e32 v82, v2
	v_sub_f32_e32 v76, v6, v56
	v_sub_f32_e32 v77, v4, v8
	v_fmac_f32_e32 v82, 0x3f737871, v81
	v_sub_f32_e32 v83, v57, v9
	v_fmac_f32_e32 v2, 0xbf737871, v81
	v_add_f32_e32 v76, v77, v76
	v_fmac_f32_e32 v82, 0xbf167918, v83
	v_fmac_f32_e32 v2, 0x3f167918, v83
	;; [unrolled: 1-line block ×4, first 2 shown]
	v_sub_f32_e32 v76, v57, v7
	v_sub_f32_e32 v77, v9, v5
	v_add_f32_e32 v85, v77, v76
	v_add_f32_e32 v76, v5, v7
	v_fma_f32 v101, -0.5, v76, v3
	v_add_f32_e32 v102, v57, v3
	v_add_f32_e32 v76, v9, v57
	v_sub_f32_e32 v87, v56, v8
	v_sub_f32_e32 v56, v7, v57
	;; [unrolled: 1-line block ×3, first 2 shown]
	v_add_f32_e32 v56, v57, v56
	v_sub_f32_e32 v57, v6, v4
	v_add_f32_e32 v6, v6, v61
	v_fmac_f32_e32 v3, -0.5, v76
	v_add_f32_e32 v4, v4, v6
	v_mov_b32_e32 v103, v3
	v_add_f32_e32 v4, v8, v4
	v_mov_b32_e32 v8, v101
	v_fmac_f32_e32 v103, 0xbf737871, v57
	v_fmac_f32_e32 v3, 0x3f737871, v57
	v_mov_b32_e32 v6, v80
	v_fmac_f32_e32 v8, 0x3f737871, v87
	v_fmac_f32_e32 v103, 0x3f167918, v87
	;; [unrolled: 1-line block ×3, first 2 shown]
	v_mov_b32_e32 v88, v28
	v_fmac_f32_e32 v6, 0xbf737871, v83
	v_fmac_f32_e32 v8, 0x3f167918, v57
	;; [unrolled: 1-line block ×4, first 2 shown]
	v_add_f32_e32 v30, v18, v30
	v_fmac_f32_e32 v88, 0xbf737871, v59
	v_fmac_f32_e32 v6, 0xbf167918, v81
	;; [unrolled: 1-line block ×3, first 2 shown]
	v_add_f32_e32 v30, v12, v30
	v_fmac_f32_e32 v88, 0xbf167918, v36
	v_fmac_f32_e32 v6, 0x3e9e377a, v32
	v_mul_f32_e32 v61, 0xbf167918, v8
	v_mul_f32_e32 v89, 0xbf737871, v103
	;; [unrolled: 1-line block ×3, first 2 shown]
	v_add_f32_e32 v30, v10, v30
	v_fmac_f32_e32 v88, 0x3e9e377a, v16
	v_fmac_f32_e32 v61, 0x3f4f1bbd, v6
	;; [unrolled: 1-line block ×4, first 2 shown]
	v_mul_i32_i24_e32 v56, 10, v70
	v_add_f32_e32 v76, v4, v30
	v_add_f32_e32 v77, v88, v61
	;; [unrolled: 1-line block ×4, first 2 shown]
	v_lshl_add_u32 v56, v56, 2, 0
	ds_write2_b64 v56, v[76:77], v[78:79] offset1:1
	v_sub_f32_e32 v77, v46, v89
	v_fmac_f32_e32 v101, 0xbf737871, v87
	v_sub_f32_e32 v79, v30, v4
	v_add_f32_e32 v30, v51, v55
	v_add_f32_e32 v46, v49, v53
	v_fmac_f32_e32 v28, 0x3f737871, v59
	v_fmac_f32_e32 v80, 0x3f737871, v83
	;; [unrolled: 1-line block ×3, first 2 shown]
	v_add_f32_e32 v4, v53, v37
	v_mul_f32_e32 v104, 0xbe9e377a, v41
	v_fma_f32 v106, -0.5, v30, v37
	v_fmac_f32_e32 v37, -0.5, v46
	v_fmac_f32_e32 v28, 0x3f167918, v36
	v_fmac_f32_e32 v80, 0x3f167918, v81
	;; [unrolled: 1-line block ×3, first 2 shown]
	v_sub_f32_e32 v81, v54, v50
	v_sub_f32_e32 v83, v52, v48
	v_fmac_f32_e32 v104, 0x3f737871, v40
	v_mov_b32_e32 v107, v37
	v_sub_f32_e32 v40, v0, v90
	v_mov_b32_e32 v0, v106
	v_fmac_f32_e32 v28, 0x3e9e377a, v16
	v_fmac_f32_e32 v80, 0x3e9e377a, v32
	v_mul_f32_e32 v16, 0xbf167918, v101
	v_add_f32_e32 v4, v55, v4
	v_sub_f32_e32 v32, v53, v55
	v_sub_f32_e32 v36, v55, v53
	;; [unrolled: 1-line block ×4, first 2 shown]
	v_add_f32_e32 v47, v47, v73
	v_fmac_f32_e32 v107, 0xbf737871, v81
	v_fmac_f32_e32 v37, 0x3f737871, v81
	;; [unrolled: 1-line block ×4, first 2 shown]
	v_add_f32_e32 v4, v51, v4
	v_add_f32_e32 v45, v45, v47
	;; [unrolled: 1-line block ×4, first 2 shown]
	v_fmac_f32_e32 v107, 0x3f167918, v83
	v_fmac_f32_e32 v37, 0xbf167918, v83
	v_mul_f32_e32 v108, 0x3f167918, v42
	v_mul_f32_e32 v109, 0x3f737871, v72
	v_fmac_f32_e32 v0, 0x3f167918, v81
	v_sub_f32_e32 v76, v88, v61
	v_add_f32_e32 v78, v28, v16
	v_add_f32_e32 v4, v49, v4
	;; [unrolled: 1-line block ×3, first 2 shown]
	v_fmac_f32_e32 v107, 0x3e9e377a, v30
	v_fmac_f32_e32 v37, 0x3e9e377a, v30
	v_fmac_f32_e32 v108, 0x3f4f1bbd, v44
	v_fmac_f32_e32 v109, 0x3e9e377a, v60
	v_fmac_f32_e32 v0, 0x3e9e377a, v105
	s_movk_i32 s0, 0xffdc
	ds_write2_b64 v56, v[78:79], v[76:77] offset0:2 offset1:3
	v_sub_f32_e32 v41, v28, v16
	v_add_f32_e32 v76, v85, v4
	v_add_f32_e32 v77, v0, v108
	;; [unrolled: 1-line block ×4, first 2 shown]
	v_mad_i32_i24 v48, v62, s0, v96
	v_mad_i32_i24 v53, v70, s0, v56
	v_lshl_add_u32 v51, v65, 2, 0
	v_fmac_f32_e32 v106, 0xbf737871, v83
	ds_write_b64 v56, v[40:41] offset:32
	s_waitcnt lgkmcnt(0)
	s_barrier
	ds_read_b32 v55, v48
	ds_read_b32 v30, v51
	v_lshl_add_u32 v50, v64, 2, 0
	v_add_u32_e32 v61, 0x1600, v48
	v_add_u32_e32 v60, 0x2200, v48
	v_add_u32_e32 v59, 0x3000, v48
	v_mad_i32_i24 v54, v67, s0, v58
	v_add_u32_e32 v127, 0xe00, v48
	v_add_u32_e32 v128, 0x1a00, v48
	;; [unrolled: 1-line block ×4, first 2 shown]
	v_lshl_add_u32 v49, v63, 2, 0
	v_add_u32_e32 v131, 0x1200, v48
	v_add_u32_e32 v132, 0x1e00, v48
	;; [unrolled: 1-line block ×4, first 2 shown]
	v_lshl_add_u32 v52, v69, 2, 0
	ds_read_b32 v36, v53
	ds_read_b32 v57, v54
	;; [unrolled: 1-line block ×5, first 2 shown]
	ds_read_b32 v72, v48 offset:15660
	ds_read2_b32 v[44:45], v61 offset0:77 offset1:212
	ds_read2_b32 v[42:43], v60 offset0:119 offset1:254
	;; [unrolled: 1-line block ×11, first 2 shown]
	s_waitcnt lgkmcnt(0)
	s_barrier
	ds_write2_b64 v96, v[76:77], v[78:79] offset1:1
	v_sub_f32_e32 v76, v0, v108
	v_fmac_f32_e32 v106, 0xbf167918, v81
	v_mul_f32_e32 v0, 0xbf4f1bbd, v75
	v_fmac_f32_e32 v106, 0x3e9e377a, v105
	v_fmac_f32_e32 v0, 0x3f167918, v74
	v_add_f32_e32 v33, v33, v97
	v_sub_f32_e32 v77, v107, v109
	v_sub_f32_e32 v75, v4, v85
	v_add_f32_e32 v74, v106, v0
	v_add_f32_e32 v4, v39, v27
	;; [unrolled: 1-line block ×3, first 2 shown]
	ds_write2_b64 v96, v[74:75], v[76:77] offset0:2 offset1:3
	v_sub_f32_e32 v75, v106, v0
	v_add_f32_e32 v0, v25, v17
	v_sub_f32_e32 v16, v26, v38
	v_sub_f32_e32 v26, v25, v27
	;; [unrolled: 1-line block ×4, first 2 shown]
	v_add_f32_e32 v29, v29, v31
	v_mul_f32_e32 v31, 0xbe9e377a, v23
	v_fma_f32 v4, -0.5, v4, v17
	v_add_f32_e32 v0, v27, v0
	v_sub_f32_e32 v27, v27, v25
	v_add_f32_e32 v25, v35, v25
	v_fmac_f32_e32 v31, 0x3f737871, v22
	v_add_f32_e32 v22, v34, v26
	v_mov_b32_e32 v26, v4
	v_fmac_f32_e32 v26, 0x3f737871, v24
	v_fmac_f32_e32 v4, 0xbf737871, v24
	v_fmac_f32_e32 v17, -0.5, v25
	v_sub_f32_e32 v74, v37, v104
	v_add_f32_e32 v0, v39, v0
	v_sub_f32_e32 v37, v39, v35
	v_fmac_f32_e32 v26, 0x3f167918, v16
	v_fmac_f32_e32 v4, 0xbf167918, v16
	v_mov_b32_e32 v25, v17
	v_fmac_f32_e32 v17, 0x3f737871, v16
	v_add_f32_e32 v0, v35, v0
	v_fmac_f32_e32 v26, 0x3e9e377a, v22
	v_fmac_f32_e32 v4, 0x3e9e377a, v22
	v_add_f32_e32 v22, v37, v27
	v_fmac_f32_e32 v17, 0xbf167918, v24
	v_mul_f32_e32 v35, 0xbf4f1bbd, v93
	v_fmac_f32_e32 v25, 0xbf737871, v16
	v_fmac_f32_e32 v17, 0x3e9e377a, v22
	;; [unrolled: 1-line block ×4, first 2 shown]
	v_mul_f32_e32 v27, 0x3f167918, v99
	v_mul_f32_e32 v24, 0x3f737871, v86
	v_add_f32_e32 v23, v17, v31
	v_sub_f32_e32 v16, v17, v31
	v_add_f32_e32 v33, v4, v35
	v_sub_f32_e32 v17, v4, v35
	v_add_f32_e32 v4, v13, v19
	v_fmac_f32_e32 v25, 0x3e9e377a, v22
	v_fmac_f32_e32 v27, 0x3f4f1bbd, v100
	;; [unrolled: 1-line block ×3, first 2 shown]
	v_sub_f32_e32 v10, v14, v10
	v_add_f32_e32 v14, v11, v15
	v_add_f32_e32 v7, v7, v102
	v_fma_f32 v4, -0.5, v4, v1
	v_add_f32_e32 v22, v25, v24
	v_sub_f32_e32 v25, v25, v24
	v_sub_f32_e32 v24, v26, v27
	v_add_f32_e32 v27, v26, v27
	v_add_f32_e32 v26, v29, v0
	v_sub_f32_e32 v34, v0, v29
	v_add_f32_e32 v0, v15, v1
	v_add_f32_e32 v5, v5, v7
	v_mov_b32_e32 v7, v4
	v_fmac_f32_e32 v1, -0.5, v14
	v_add_f32_e32 v0, v19, v0
	v_sub_f32_e32 v12, v18, v12
	v_sub_f32_e32 v18, v15, v19
	;; [unrolled: 1-line block ×4, first 2 shown]
	v_add_f32_e32 v9, v9, v5
	v_mul_f32_e32 v3, 0xbe9e377a, v3
	v_fmac_f32_e32 v7, 0x3f737871, v10
	v_fmac_f32_e32 v4, 0xbf737871, v10
	v_mov_b32_e32 v5, v1
	v_add_f32_e32 v0, v13, v0
	v_sub_f32_e32 v13, v13, v11
	v_fmac_f32_e32 v3, 0x3f737871, v2
	v_add_f32_e32 v2, v15, v18
	v_fmac_f32_e32 v7, 0x3f167918, v12
	v_fmac_f32_e32 v4, 0xbf167918, v12
	;; [unrolled: 1-line block ×6, first 2 shown]
	v_add_f32_e32 v2, v13, v19
	v_fmac_f32_e32 v5, 0x3f167918, v10
	v_fmac_f32_e32 v1, 0xbf167918, v10
	v_mul_f32_e32 v10, 0x3f167918, v6
	v_mul_f32_e32 v6, 0x3f737871, v82
	v_add_f32_e32 v0, v11, v0
	v_fmac_f32_e32 v5, 0x3e9e377a, v2
	v_fmac_f32_e32 v1, 0x3e9e377a, v2
	;; [unrolled: 1-line block ×4, first 2 shown]
	v_mul_f32_e32 v11, 0xbf4f1bbd, v101
	s_mov_b32 s0, 0xcccd
	v_fmac_f32_e32 v11, 0x3f167918, v80
	v_add_f32_e32 v2, v1, v3
	v_sub_f32_e32 v3, v1, v3
	v_add_f32_e32 v1, v5, v6
	v_sub_f32_e32 v6, v5, v6
	v_sub_f32_e32 v5, v7, v10
	v_add_f32_e32 v8, v7, v10
	v_add_f32_e32 v7, v9, v0
	v_sub_f32_e32 v10, v0, v9
	v_mul_u32_u24_sdwa v0, v67, s0 dst_sel:DWORD dst_unused:UNUSED_PAD src0_sel:WORD_0 src1_sel:DWORD
	ds_write_b64 v96, v[74:75] offset:32
	v_add_f32_e32 v9, v4, v11
	v_sub_f32_e32 v4, v4, v11
	ds_write2_b64 v58, v[26:27], v[22:23] offset1:1
	ds_write2_b64 v58, v[33:34], v[24:25] offset0:2 offset1:3
	ds_write_b64 v58, v[16:17] offset:32
	ds_write2_b64 v56, v[7:8], v[1:2] offset1:1
	ds_write2_b64 v56, v[9:10], v[5:6] offset0:2 offset1:3
	ds_write_b64 v56, v[3:4] offset:32
	v_lshrrev_b32_e32 v26, 19, v0
	v_mul_lo_u16_e32 v0, 10, v26
	v_sub_u16_e32 v101, v67, v0
	v_lshlrev_b32_e32 v0, 5, v101
	s_waitcnt lgkmcnt(0)
	s_barrier
	global_load_dwordx4 v[6:9], v0, s[8:9]
	v_mul_u32_u24_sdwa v1, v70, s0 dst_sel:DWORD dst_unused:UNUSED_PAD src0_sel:WORD_0 src1_sel:DWORD
	v_lshrrev_b32_e32 v24, 19, v1
	v_mul_lo_u16_e32 v1, 10, v24
	v_sub_u16_e32 v25, v70, v1
	v_lshlrev_b32_e32 v1, 5, v25
	global_load_dwordx4 v[12:15], v1, s[8:9]
	global_load_dwordx4 v[78:81], v0, s[8:9] offset:16
	global_load_dwordx4 v[83:86], v1, s[8:9] offset:16
	v_mul_u32_u24_sdwa v0, v63, s0 dst_sel:DWORD dst_unused:UNUSED_PAD src0_sel:WORD_0 src1_sel:DWORD
	v_lshrrev_b32_e32 v103, 19, v0
	v_mul_lo_u16_e32 v0, 10, v103
	v_sub_u16_e32 v104, v63, v0
	v_mul_u32_u24_sdwa v1, v65, s0 dst_sel:DWORD dst_unused:UNUSED_PAD src0_sel:WORD_0 src1_sel:DWORD
	v_lshlrev_b32_e32 v0, 5, v104
	v_lshrrev_b32_e32 v27, 19, v1
	global_load_dwordx4 v[109:112], v0, s[8:9]
	v_mul_lo_u16_e32 v1, 10, v27
	v_sub_u16_e32 v102, v65, v1
	v_lshlrev_b32_e32 v1, 5, v102
	global_load_dwordx4 v[113:116], v1, s[8:9]
	global_load_dwordx4 v[117:120], v0, s[8:9] offset:16
	ds_read2_b32 v[16:17], v127 offset0:49 offset1:184
	ds_read2_b32 v[18:19], v128 offset0:91 offset1:226
	s_movk_i32 s1, 0xcd
	global_load_dwordx4 v[0:3], v1, s[8:9] offset:16
	ds_read2_b32 v[22:23], v129 offset0:5 offset1:140
	s_waitcnt vmcnt(7)
	v_mul_f32_e32 v4, v87, v7
	s_waitcnt lgkmcnt(2)
	v_fma_f32 v34, v16, v6, -v4
	v_mul_lo_u16_sdwa v4, v62, s1 dst_sel:DWORD dst_unused:UNUSED_PAD src0_sel:BYTE_0 src1_sel:DWORD
	v_lshrrev_b16_e32 v107, 11, v4
	v_mul_lo_u16_e32 v4, 10, v107
	v_sub_u16_e32 v108, v62, v4
	v_mov_b32_e32 v4, 5
	v_mul_f32_e32 v37, v16, v7
	s_waitcnt lgkmcnt(1)
	v_mul_f32_e32 v39, v18, v9
	v_mul_f32_e32 v9, v89, v9
	v_lshlrev_b32_sdwa v16, v4, v108 dst_sel:DWORD dst_unused:UNUSED_PAD src0_sel:DWORD src1_sel:BYTE_0
	v_fmac_f32_e32 v37, v87, v6
	global_load_dwordx4 v[4:7], v16, s[8:9]
	v_fmac_f32_e32 v39, v89, v8
	v_fma_f32 v77, v18, v8, -v9
	v_mul_u32_u24_sdwa v8, v69, s0 dst_sel:DWORD dst_unused:UNUSED_PAD src0_sel:WORD_0 src1_sel:DWORD
	v_lshrrev_b32_e32 v105, 19, v8
	v_mul_lo_u16_e32 v8, 10, v105
	v_sub_u16_e32 v106, v69, v8
	v_lshlrev_b32_e32 v18, 5, v106
	global_load_dwordx4 v[8:11], v18, s[8:9]
	s_waitcnt vmcnt(8)
	v_mul_f32_e32 v38, v17, v13
	v_mul_f32_e32 v13, v88, v13
	v_fmac_f32_e32 v38, v88, v12
	v_fma_f32 v74, v17, v12, -v13
	v_mul_f32_e32 v82, v19, v15
	v_mul_f32_e32 v12, v90, v15
	v_fmac_f32_e32 v82, v90, v14
	v_fma_f32 v76, v19, v14, -v12
	global_load_dwordx4 v[12:15], v16, s[8:9] offset:16
	s_waitcnt vmcnt(8)
	v_mul_f32_e32 v16, v91, v79
	s_waitcnt lgkmcnt(0)
	v_fma_f32 v93, v22, v78, -v16
	global_load_dwordx4 v[16:19], v18, s[8:9] offset:16
	ds_read2_b32 v[87:88], v130 offset0:47 offset1:182
	v_mul_f32_e32 v97, v22, v79
	v_mul_f32_e32 v22, v94, v81
	v_fmac_f32_e32 v97, v91, v78
	ds_read2_b32 v[78:79], v132 offset0:105 offset1:240
	s_waitcnt lgkmcnt(1)
	v_mul_f32_e32 v99, v87, v81
	v_fma_f32 v98, v87, v80, -v22
	s_waitcnt vmcnt(8)
	v_mul_f32_e32 v22, v92, v84
	v_fmac_f32_e32 v99, v94, v80
	v_mul_f32_e32 v94, v23, v84
	v_fma_f32 v90, v23, v83, -v22
	ds_read2_b32 v[22:23], v131 offset0:63 offset1:198
	v_mul_f32_e32 v29, v95, v86
	v_fma_f32 v91, v88, v85, -v29
	s_waitcnt vmcnt(7)
	v_mul_f32_e32 v29, v121, v110
	v_fmac_f32_e32 v94, v92, v83
	s_waitcnt lgkmcnt(0)
	v_mul_f32_e32 v87, v22, v110
	v_fma_f32 v81, v22, v109, -v29
	v_mul_f32_e32 v22, v123, v112
	v_mul_f32_e32 v96, v88, v86
	v_fma_f32 v83, v78, v111, -v22
	s_waitcnt vmcnt(6)
	v_mul_f32_e32 v22, v122, v114
	v_fmac_f32_e32 v96, v95, v85
	v_fma_f32 v35, v23, v113, -v22
	ds_read2_b32 v[85:86], v133 offset0:19 offset1:154
	v_mul_f32_e32 v22, v124, v116
	v_mul_f32_e32 v88, v78, v112
	;; [unrolled: 1-line block ×3, first 2 shown]
	v_fma_f32 v75, v79, v115, -v22
	ds_read2_b32 v[22:23], v134 offset0:61 offset1:196
	s_waitcnt vmcnt(5)
	v_mul_f32_e32 v29, v125, v118
	s_waitcnt lgkmcnt(1)
	v_mul_f32_e32 v92, v85, v118
	v_fma_f32 v85, v85, v117, -v29
	v_mul_f32_e32 v29, v46, v120
	v_fmac_f32_e32 v87, v121, v109
	s_waitcnt lgkmcnt(0)
	v_mul_f32_e32 v95, v22, v120
	v_fma_f32 v89, v22, v119, -v29
	ds_read_b32 v33, v51
	ds_read_b32 v31, v52
	;; [unrolled: 1-line block ×6, first 2 shown]
	s_waitcnt vmcnt(4)
	v_mul_f32_e32 v84, v86, v1
	v_mul_f32_e32 v1, v126, v1
	;; [unrolled: 1-line block ×3, first 2 shown]
	v_fmac_f32_e32 v84, v126, v0
	v_fma_f32 v79, v86, v0, -v1
	v_mul_f32_e32 v0, v47, v3
	v_fmac_f32_e32 v88, v123, v111
	v_mul_f32_e32 v86, v23, v3
	v_fma_f32 v111, v23, v2, -v0
	ds_read2_b32 v[0:1], v61 offset0:77 offset1:212
	ds_read_b32 v3, v48 offset:15660
	v_fmac_f32_e32 v86, v47, v2
	v_fmac_f32_e32 v78, v122, v113
	v_fmac_f32_e32 v80, v124, v115
	v_fmac_f32_e32 v92, v125, v117
	v_fmac_f32_e32 v95, v46, v119
	v_mov_b32_e32 v29, 2
	ds_read_b32 v120, v48
	v_add_u32_e32 v46, 0x1800, v48
	v_add_u32_e32 v47, 0x2e00, v48
	s_waitcnt vmcnt(3) lgkmcnt(3)
	v_mul_f32_e32 v23, v22, v5
	v_mul_f32_e32 v2, v73, v5
	v_fmac_f32_e32 v23, v73, v4
	v_fma_f32 v73, v22, v4, -v2
	v_mul_f32_e32 v2, v45, v7
	s_waitcnt lgkmcnt(2)
	v_mul_f32_e32 v4, v1, v7
	v_fma_f32 v112, v1, v6, -v2
	ds_read2_b32 v[1:2], v60 offset0:119 offset1:254
	s_waitcnt vmcnt(2)
	v_mul_f32_e32 v5, v44, v9
	v_mul_f32_e32 v60, v0, v9
	v_fma_f32 v113, v0, v8, -v5
	v_mul_f32_e32 v0, v42, v11
	s_waitcnt lgkmcnt(0)
	v_mul_f32_e32 v114, v1, v11
	v_fma_f32 v115, v1, v10, -v0
	ds_read2_b32 v[0:1], v59 offset0:33 offset1:168
	v_fmac_f32_e32 v4, v45, v6
	v_fmac_f32_e32 v60, v44, v8
	s_waitcnt vmcnt(1)
	v_mul_f32_e32 v6, v43, v13
	v_fma_f32 v116, v2, v12, -v6
	v_mul_f32_e32 v6, v41, v15
	v_mul_f32_e32 v5, v2, v13
	s_waitcnt lgkmcnt(0)
	v_mul_f32_e32 v2, v1, v15
	v_fma_f32 v117, v1, v14, -v6
	s_waitcnt vmcnt(0)
	v_mul_f32_e32 v1, v40, v17
	v_fmac_f32_e32 v5, v43, v12
	v_fmac_f32_e32 v2, v41, v14
	v_mul_f32_e32 v118, v0, v17
	v_fma_f32 v119, v0, v16, -v1
	v_mul_f32_e32 v0, v72, v19
	v_fma_f32 v122, v3, v18, -v0
	v_sub_f32_e32 v0, v23, v4
	v_sub_f32_e32 v1, v2, v5
	v_mul_f32_e32 v121, v3, v19
	v_add_f32_e32 v0, v0, v1
	v_lshlrev_b32_sdwa v1, v29, v108 dst_sel:DWORD dst_unused:UNUSED_PAD src0_sel:DWORD src1_sel:BYTE_0
	v_mul_u32_u24_e32 v3, 0xc8, v107
	v_add3_u32 v107, 0, v3, v1
	v_add_f32_e32 v3, v4, v5
	v_fma_f32 v3, -0.5, v3, v55
	v_add_f32_e32 v1, v55, v23
	v_sub_f32_e32 v6, v73, v117
	v_mov_b32_e32 v7, v3
	v_add_f32_e32 v1, v1, v4
	v_fmac_f32_e32 v7, 0xbf737871, v6
	v_sub_f32_e32 v8, v112, v116
	v_add_f32_e32 v1, v1, v5
	v_fmac_f32_e32 v7, 0xbf167918, v8
	v_add_f32_e32 v1, v1, v2
	v_fmac_f32_e32 v7, 0x3e9e377a, v0
	s_barrier
	ds_write2_b32 v107, v1, v7 offset1:10
	v_add_f32_e32 v1, v23, v2
	v_fmac_f32_e32 v55, -0.5, v1
	v_sub_f32_e32 v1, v4, v23
	v_sub_f32_e32 v7, v5, v2
	v_add_f32_e32 v1, v1, v7
	v_mov_b32_e32 v7, v55
	v_fmac_f32_e32 v7, 0x3f737871, v8
	v_fmac_f32_e32 v55, 0xbf737871, v8
	v_fmac_f32_e32 v3, 0x3f737871, v6
	v_fmac_f32_e32 v7, 0xbf167918, v6
	v_fmac_f32_e32 v55, 0x3f167918, v6
	v_fmac_f32_e32 v3, 0x3f167918, v8
	v_fmac_f32_e32 v7, 0x3e9e377a, v1
	v_fmac_f32_e32 v55, 0x3e9e377a, v1
	v_fmac_f32_e32 v3, 0x3e9e377a, v0
	v_sub_f32_e32 v0, v37, v39
	v_sub_f32_e32 v1, v99, v97
	v_add_f32_e32 v0, v0, v1
	ds_write_b32 v107, v3 offset:160
	v_lshlrev_b32_e32 v1, 2, v101
	v_mul_u32_u24_e32 v3, 0xc8, v26
	v_add3_u32 v101, 0, v3, v1
	v_add_f32_e32 v3, v39, v97
	v_fma_f32 v3, -0.5, v3, v57
	ds_write2_b32 v107, v7, v55 offset0:20 offset1:30
	v_add_f32_e32 v1, v57, v37
	v_sub_f32_e32 v6, v34, v98
	v_mov_b32_e32 v7, v3
	v_add_f32_e32 v1, v1, v39
	v_fmac_f32_e32 v7, 0xbf737871, v6
	v_sub_f32_e32 v8, v77, v93
	v_add_f32_e32 v1, v1, v97
	v_fmac_f32_e32 v7, 0xbf167918, v8
	v_add_f32_e32 v1, v1, v99
	v_fmac_f32_e32 v7, 0x3e9e377a, v0
	ds_write2_b32 v101, v1, v7 offset1:10
	v_add_f32_e32 v1, v37, v99
	v_fmac_f32_e32 v57, -0.5, v1
	v_sub_f32_e32 v1, v39, v37
	v_sub_f32_e32 v7, v97, v99
	v_add_f32_e32 v1, v1, v7
	v_mov_b32_e32 v7, v57
	v_fmac_f32_e32 v7, 0x3f737871, v8
	v_fmac_f32_e32 v57, 0xbf737871, v8
	v_fmac_f32_e32 v3, 0x3f737871, v6
	v_fmac_f32_e32 v7, 0xbf167918, v6
	v_fmac_f32_e32 v57, 0x3f167918, v6
	v_fmac_f32_e32 v3, 0x3f167918, v8
	v_fmac_f32_e32 v7, 0x3e9e377a, v1
	v_fmac_f32_e32 v57, 0x3e9e377a, v1
	v_fmac_f32_e32 v3, 0x3e9e377a, v0
	v_sub_f32_e32 v0, v38, v82
	v_sub_f32_e32 v1, v96, v94
	v_add_f32_e32 v0, v0, v1
	ds_write_b32 v101, v3 offset:160
	v_lshlrev_b32_e32 v1, 2, v25
	v_mul_u32_u24_e32 v3, 0xc8, v24
	v_add3_u32 v108, 0, v3, v1
	v_add_f32_e32 v3, v82, v94
	v_fma_f32 v3, -0.5, v3, v36
	ds_write2_b32 v101, v7, v57 offset0:20 offset1:30
	v_add_f32_e32 v1, v36, v38
	v_sub_f32_e32 v6, v74, v91
	v_mov_b32_e32 v7, v3
	v_add_f32_e32 v1, v1, v82
	v_fmac_f32_e32 v7, 0xbf737871, v6
	v_sub_f32_e32 v8, v76, v90
	v_add_f32_e32 v1, v1, v94
	v_fmac_f32_e32 v7, 0xbf167918, v8
	v_add_f32_e32 v1, v1, v96
	v_fmac_f32_e32 v7, 0x3e9e377a, v0
	ds_write2_b32 v108, v1, v7 offset1:10
	v_add_f32_e32 v1, v38, v96
	v_fmac_f32_e32 v36, -0.5, v1
	v_sub_f32_e32 v1, v82, v38
	v_sub_f32_e32 v7, v94, v96
	v_add_f32_e32 v1, v1, v7
	v_mov_b32_e32 v7, v36
	v_fmac_f32_e32 v7, 0x3f737871, v8
	v_fmac_f32_e32 v36, 0xbf737871, v8
	v_fmac_f32_e32 v3, 0x3f737871, v6
	v_fmac_f32_e32 v7, 0xbf167918, v6
	v_fmac_f32_e32 v36, 0x3f167918, v6
	v_fmac_f32_e32 v3, 0x3f167918, v8
	v_fmac_f32_e32 v7, 0x3e9e377a, v1
	v_fmac_f32_e32 v36, 0x3e9e377a, v1
	v_fmac_f32_e32 v3, 0x3e9e377a, v0
	v_sub_f32_e32 v0, v87, v88
	v_sub_f32_e32 v1, v95, v92
	v_add_f32_e32 v0, v0, v1
	ds_write_b32 v108, v3 offset:160
	v_lshlrev_b32_e32 v1, 2, v104
	v_mul_u32_u24_e32 v3, 0xc8, v103
	v_add3_u32 v103, 0, v3, v1
	v_add_f32_e32 v3, v88, v92
	v_fma_f32 v3, -0.5, v3, v32
	ds_write2_b32 v108, v7, v36 offset0:20 offset1:30
	v_add_f32_e32 v1, v32, v87
	v_sub_f32_e32 v6, v81, v89
	v_mov_b32_e32 v7, v3
	v_add_f32_e32 v1, v1, v88
	v_fmac_f32_e32 v7, 0xbf737871, v6
	v_sub_f32_e32 v8, v83, v85
	v_add_f32_e32 v1, v1, v92
	v_fmac_f32_e32 v7, 0xbf167918, v8
	v_add_f32_e32 v1, v1, v95
	v_fmac_f32_e32 v7, 0x3e9e377a, v0
	ds_write2_b32 v103, v1, v7 offset1:10
	v_add_f32_e32 v1, v87, v95
	v_fmac_f32_e32 v32, -0.5, v1
	v_sub_f32_e32 v1, v88, v87
	v_sub_f32_e32 v7, v92, v95
	v_add_f32_e32 v1, v1, v7
	v_mov_b32_e32 v7, v32
	v_fmac_f32_e32 v7, 0x3f737871, v8
	v_fmac_f32_e32 v32, 0xbf737871, v8
	v_fmac_f32_e32 v3, 0x3f737871, v6
	v_fmac_f32_e32 v7, 0xbf167918, v6
	v_fmac_f32_e32 v32, 0x3f167918, v6
	v_fmac_f32_e32 v3, 0x3f167918, v8
	v_fmac_f32_e32 v7, 0x3e9e377a, v1
	v_fmac_f32_e32 v32, 0x3e9e377a, v1
	v_fmac_f32_e32 v3, 0x3e9e377a, v0
	v_sub_f32_e32 v0, v78, v80
	v_sub_f32_e32 v1, v86, v84
	v_add_f32_e32 v0, v0, v1
	ds_write_b32 v103, v3 offset:160
	v_lshlrev_b32_e32 v1, 2, v102
	v_mul_u32_u24_e32 v3, 0xc8, v27
	v_add3_u32 v102, 0, v3, v1
	v_add_f32_e32 v3, v80, v84
	v_fma_f32 v3, -0.5, v3, v30
	ds_write2_b32 v103, v7, v32 offset0:20 offset1:30
	v_add_f32_e32 v1, v30, v78
	v_sub_f32_e32 v6, v35, v111
	v_mov_b32_e32 v7, v3
	v_add_f32_e32 v1, v1, v80
	v_fmac_f32_e32 v7, 0xbf737871, v6
	v_sub_f32_e32 v8, v75, v79
	v_add_f32_e32 v1, v1, v84
	v_fmac_f32_e32 v7, 0xbf167918, v8
	v_add_f32_e32 v1, v1, v86
	v_fmac_f32_e32 v7, 0x3e9e377a, v0
	ds_write2_b32 v102, v1, v7 offset1:10
	v_add_f32_e32 v1, v78, v86
	v_fmac_f32_e32 v30, -0.5, v1
	v_sub_f32_e32 v1, v80, v78
	v_sub_f32_e32 v7, v84, v86
	v_add_f32_e32 v1, v1, v7
	v_mov_b32_e32 v7, v30
	v_fmac_f32_e32 v7, 0x3f737871, v8
	v_fmac_f32_e32 v30, 0xbf737871, v8
	;; [unrolled: 1-line block ×12, first 2 shown]
	v_sub_f32_e32 v0, v60, v114
	v_sub_f32_e32 v1, v121, v118
	v_add_f32_e32 v0, v0, v1
	ds_write_b32 v102, v3 offset:160
	v_lshlrev_b32_e32 v1, 2, v106
	v_mul_u32_u24_e32 v3, 0xc8, v105
	v_add3_u32 v104, 0, v3, v1
	v_add_f32_e32 v3, v114, v118
	v_fma_f32 v3, -0.5, v3, v28
	ds_write2_b32 v102, v7, v30 offset0:20 offset1:30
	v_add_f32_e32 v1, v28, v60
	v_sub_f32_e32 v6, v113, v122
	v_mov_b32_e32 v7, v3
	v_add_f32_e32 v1, v1, v114
	v_fmac_f32_e32 v7, 0xbf737871, v6
	v_sub_f32_e32 v8, v115, v119
	v_fmac_f32_e32 v3, 0x3f737871, v6
	v_add_f32_e32 v1, v1, v118
	v_fmac_f32_e32 v7, 0xbf167918, v8
	v_fmac_f32_e32 v3, 0x3f167918, v8
	v_add_f32_e32 v1, v1, v121
	v_fmac_f32_e32 v7, 0x3e9e377a, v0
	v_fmac_f32_e32 v3, 0x3e9e377a, v0
	v_add_f32_e32 v0, v120, v73
	ds_write2_b32 v104, v1, v7 offset1:10
	v_add_f32_e32 v1, v60, v121
	v_add_f32_e32 v0, v0, v112
	v_fmac_f32_e32 v28, -0.5, v1
	v_sub_f32_e32 v1, v114, v60
	v_sub_f32_e32 v7, v118, v121
	v_add_f32_e32 v0, v0, v116
	v_add_f32_e32 v1, v1, v7
	v_mov_b32_e32 v7, v28
	v_add_f32_e32 v124, v0, v117
	v_add_f32_e32 v0, v112, v116
	v_fmac_f32_e32 v7, 0x3f737871, v8
	v_fmac_f32_e32 v28, 0xbf737871, v8
	v_fma_f32 v125, -0.5, v0, v120
	v_fmac_f32_e32 v7, 0xbf167918, v6
	v_fmac_f32_e32 v28, 0x3f167918, v6
	v_sub_f32_e32 v105, v23, v2
	v_mov_b32_e32 v126, v125
	v_fmac_f32_e32 v7, 0x3e9e377a, v1
	v_fmac_f32_e32 v28, 0x3e9e377a, v1
	v_sub_f32_e32 v106, v4, v5
	v_sub_f32_e32 v1, v73, v112
	;; [unrolled: 1-line block ×3, first 2 shown]
	v_fmac_f32_e32 v126, 0x3f737871, v105
	v_add_f32_e32 v123, v1, v2
	v_fmac_f32_e32 v126, 0x3f167918, v106
	v_fmac_f32_e32 v126, 0x3e9e377a, v123
	v_add_u32_e32 v44, 0x1400, v48
	ds_write2_b32 v104, v7, v28 offset0:20 offset1:30
	ds_write_b32 v104, v3 offset:160
	s_waitcnt lgkmcnt(0)
	s_barrier
	ds_read_b32 v61, v48
	v_add_u32_e32 v45, 0x2a00, v48
	ds_read_b32 v43, v54
	ds_read_b32 v41, v53
	v_add_u32_e32 v55, 0x1c00, v48
	v_add_u32_e32 v57, 0x3200, v48
	v_lshl_add_u32 v24, v68, 2, 0
	v_lshl_add_u32 v25, v71, 2, 0
	;; [unrolled: 1-line block ×3, first 2 shown]
	ds_read_b32 v40, v52
	ds_read_b32 v32, v24
	;; [unrolled: 1-line block ×7, first 2 shown]
	v_add_u32_e32 v23, 0x2000, v48
	v_add_u32_e32 v22, 0x3600, v48
	;; [unrolled: 1-line block ×4, first 2 shown]
	ds_read2_b32 v[18:19], v44 offset0:70 offset1:205
	ds_read2_b32 v[16:17], v45 offset0:12 offset1:147
	;; [unrolled: 1-line block ×10, first 2 shown]
	s_waitcnt lgkmcnt(0)
	s_barrier
	ds_write2_b32 v107, v124, v126 offset1:10
	v_add_f32_e32 v124, v73, v117
	v_fmac_f32_e32 v120, -0.5, v124
	v_sub_f32_e32 v73, v112, v73
	v_sub_f32_e32 v112, v116, v117
	v_add_f32_e32 v73, v73, v112
	v_mov_b32_e32 v112, v120
	v_fmac_f32_e32 v112, 0xbf737871, v106
	v_fmac_f32_e32 v120, 0x3f737871, v106
	;; [unrolled: 1-line block ×4, first 2 shown]
	v_sub_f32_e32 v37, v37, v99
	v_add_f32_e32 v99, v77, v93
	v_fmac_f32_e32 v112, 0x3e9e377a, v73
	v_fmac_f32_e32 v120, 0x3e9e377a, v73
	v_sub_f32_e32 v39, v39, v97
	v_sub_f32_e32 v73, v34, v77
	;; [unrolled: 1-line block ×3, first 2 shown]
	v_fma_f32 v99, -0.5, v99, v109
	v_fmac_f32_e32 v125, 0xbf737871, v105
	v_add_f32_e32 v73, v73, v97
	v_add_f32_e32 v97, v109, v34
	v_mov_b32_e32 v105, v99
	v_add_f32_e32 v97, v97, v77
	v_fmac_f32_e32 v105, 0x3f737871, v37
	v_fmac_f32_e32 v125, 0xbf167918, v106
	v_add_f32_e32 v97, v97, v93
	v_fmac_f32_e32 v105, 0x3f167918, v39
	v_fmac_f32_e32 v125, 0x3e9e377a, v123
	v_add_f32_e32 v97, v97, v98
	v_fmac_f32_e32 v105, 0x3e9e377a, v73
	ds_write2_b32 v107, v112, v120 offset0:20 offset1:30
	ds_write_b32 v107, v125 offset:160
	ds_write2_b32 v101, v97, v105 offset1:10
	v_add_f32_e32 v97, v34, v98
	v_fmac_f32_e32 v109, -0.5, v97
	v_sub_f32_e32 v34, v77, v34
	v_sub_f32_e32 v77, v93, v98
	v_add_f32_e32 v34, v34, v77
	v_mov_b32_e32 v77, v109
	v_fmac_f32_e32 v99, 0xbf737871, v37
	v_fmac_f32_e32 v77, 0xbf737871, v39
	;; [unrolled: 1-line block ×7, first 2 shown]
	v_add_f32_e32 v73, v76, v90
	v_fmac_f32_e32 v77, 0x3e9e377a, v34
	v_fmac_f32_e32 v109, 0x3e9e377a, v34
	v_sub_f32_e32 v34, v38, v96
	v_sub_f32_e32 v38, v74, v76
	v_sub_f32_e32 v39, v91, v90
	v_fma_f32 v73, -0.5, v73, v100
	ds_write2_b32 v101, v77, v109 offset0:20 offset1:30
	v_add_f32_e32 v38, v38, v39
	v_add_f32_e32 v39, v100, v74
	v_mov_b32_e32 v77, v73
	v_sub_f32_e32 v37, v82, v94
	v_add_f32_e32 v39, v39, v76
	v_fmac_f32_e32 v77, 0x3f737871, v34
	v_add_f32_e32 v39, v39, v90
	v_fmac_f32_e32 v77, 0x3f167918, v37
	;; [unrolled: 2-line block ×3, first 2 shown]
	ds_write_b32 v101, v99 offset:160
	ds_write2_b32 v108, v39, v77 offset1:10
	v_add_f32_e32 v39, v74, v91
	v_fmac_f32_e32 v100, -0.5, v39
	v_sub_f32_e32 v39, v76, v74
	v_sub_f32_e32 v74, v90, v91
	v_fmac_f32_e32 v73, 0xbf737871, v34
	v_add_f32_e32 v39, v39, v74
	v_mov_b32_e32 v74, v100
	v_fmac_f32_e32 v73, 0xbf167918, v37
	v_fmac_f32_e32 v74, 0xbf737871, v37
	;; [unrolled: 1-line block ×6, first 2 shown]
	ds_write_b32 v108, v73 offset:160
	v_add_f32_e32 v73, v83, v85
	v_fmac_f32_e32 v74, 0x3e9e377a, v39
	v_fmac_f32_e32 v100, 0x3e9e377a, v39
	v_sub_f32_e32 v38, v81, v83
	v_sub_f32_e32 v39, v89, v85
	v_fma_f32 v73, -0.5, v73, v110
	ds_write2_b32 v108, v74, v100 offset0:20 offset1:30
	v_sub_f32_e32 v34, v87, v95
	v_add_f32_e32 v38, v38, v39
	v_add_f32_e32 v39, v110, v81
	v_mov_b32_e32 v74, v73
	v_sub_f32_e32 v37, v88, v92
	v_add_f32_e32 v39, v39, v83
	v_fmac_f32_e32 v74, 0x3f737871, v34
	v_fmac_f32_e32 v73, 0xbf737871, v34
	v_add_f32_e32 v39, v39, v85
	v_fmac_f32_e32 v74, 0x3f167918, v37
	v_fmac_f32_e32 v73, 0xbf167918, v37
	;; [unrolled: 3-line block ×3, first 2 shown]
	v_add_f32_e32 v38, v81, v89
	ds_write2_b32 v103, v39, v74 offset1:10
	v_fmac_f32_e32 v110, -0.5, v38
	v_sub_f32_e32 v38, v83, v81
	v_sub_f32_e32 v39, v85, v89
	v_add_f32_e32 v38, v38, v39
	v_mov_b32_e32 v39, v110
	v_fmac_f32_e32 v39, 0xbf737871, v37
	v_fmac_f32_e32 v110, 0x3f737871, v37
	;; [unrolled: 1-line block ×6, first 2 shown]
	v_sub_f32_e32 v38, v35, v75
	v_sub_f32_e32 v74, v111, v79
	v_add_f32_e32 v38, v38, v74
	v_add_f32_e32 v74, v75, v79
	v_fma_f32 v74, -0.5, v74, v33
	v_sub_f32_e32 v34, v78, v86
	v_mov_b32_e32 v76, v74
	v_sub_f32_e32 v37, v80, v84
	v_fmac_f32_e32 v76, 0x3f737871, v34
	v_fmac_f32_e32 v74, 0xbf737871, v34
	;; [unrolled: 1-line block ×6, first 2 shown]
	v_add_f32_e32 v38, v33, v35
	v_add_f32_e32 v77, v35, v111
	v_fmac_f32_e32 v33, -0.5, v77
	v_add_f32_e32 v38, v38, v75
	v_sub_f32_e32 v35, v75, v35
	v_sub_f32_e32 v75, v79, v111
	v_add_f32_e32 v35, v35, v75
	v_mov_b32_e32 v75, v33
	v_fmac_f32_e32 v75, 0xbf737871, v37
	v_fmac_f32_e32 v33, 0x3f737871, v37
	;; [unrolled: 1-line block ×4, first 2 shown]
	v_sub_f32_e32 v34, v60, v121
	v_sub_f32_e32 v37, v113, v115
	;; [unrolled: 1-line block ×3, first 2 shown]
	v_add_f32_e32 v37, v37, v60
	v_add_f32_e32 v60, v115, v119
	v_fma_f32 v60, -0.5, v60, v31
	v_mov_b32_e32 v77, v60
	v_fmac_f32_e32 v75, 0x3e9e377a, v35
	v_fmac_f32_e32 v33, 0x3e9e377a, v35
	v_sub_f32_e32 v35, v114, v118
	v_fmac_f32_e32 v77, 0x3f737871, v34
	v_fmac_f32_e32 v60, 0xbf737871, v34
	v_fmac_f32_e32 v77, 0x3f167918, v35
	v_fmac_f32_e32 v60, 0xbf167918, v35
	v_add_f32_e32 v78, v113, v122
	v_add_f32_e32 v38, v38, v79
	v_fmac_f32_e32 v77, 0x3e9e377a, v37
	v_fmac_f32_e32 v60, 0x3e9e377a, v37
	v_add_f32_e32 v37, v31, v113
	v_fmac_f32_e32 v31, -0.5, v78
	v_sub_f32_e32 v78, v115, v113
	v_sub_f32_e32 v79, v119, v122
	v_add_f32_e32 v78, v78, v79
	v_mov_b32_e32 v79, v31
	v_fmac_f32_e32 v31, 0x3f737871, v35
	v_add_f32_e32 v37, v37, v115
	v_fmac_f32_e32 v79, 0xbf737871, v35
	v_fmac_f32_e32 v31, 0xbf167918, v34
	v_add_f32_e32 v37, v37, v119
	v_fmac_f32_e32 v79, 0x3f167918, v34
	v_fmac_f32_e32 v31, 0x3e9e377a, v78
	v_add_f32_e32 v38, v38, v111
	v_add_f32_e32 v37, v37, v122
	v_fmac_f32_e32 v79, 0x3e9e377a, v78
	ds_write2_b32 v103, v39, v110 offset0:20 offset1:30
	ds_write_b32 v103, v73 offset:160
	ds_write2_b32 v102, v38, v76 offset1:10
	ds_write2_b32 v102, v75, v33 offset0:20 offset1:30
	ds_write_b32 v102, v74 offset:160
	ds_write2_b32 v104, v37, v77 offset1:10
	ds_write2_b32 v104, v79, v31 offset0:20 offset1:30
	ds_write_b32 v104, v60 offset:160
	v_mov_b32_e32 v31, 41
	v_mul_lo_u16_sdwa v31, v62, v31 dst_sel:DWORD dst_unused:UNUSED_PAD src0_sel:BYTE_0 src1_sel:DWORD
	v_lshrrev_b16_e32 v75, 11, v31
	v_mul_lo_u16_e32 v31, 50, v75
	v_sub_u16_e32 v76, v62, v31
	v_mov_b32_e32 v31, 4
	v_lshlrev_b32_sdwa v31, v31, v76 dst_sel:DWORD dst_unused:UNUSED_PAD src0_sel:DWORD src1_sel:BYTE_0
	s_waitcnt lgkmcnt(0)
	s_barrier
	global_load_dwordx4 v[87:90], v31, s[8:9] offset:320
	v_lshrrev_b16_e32 v31, 1, v67
	v_mul_u32_u24_e32 v31, 0x147b, v31
	v_lshrrev_b32_e32 v73, 17, v31
	v_mul_lo_u16_e32 v31, 50, v73
	v_sub_u16_e32 v74, v67, v31
	v_lshlrev_b32_e32 v31, 4, v74
	v_lshrrev_b16_e32 v33, 1, v70
	global_load_dwordx4 v[91:94], v31, s[8:9] offset:320
	v_mul_u32_u24_e32 v31, 0x147b, v33
	v_lshrrev_b32_e32 v77, 17, v31
	v_mul_lo_u16_e32 v31, 50, v77
	v_sub_u16_e32 v78, v70, v31
	v_lshlrev_b32_e32 v31, 4, v78
	global_load_dwordx4 v[95:98], v31, s[8:9] offset:320
	v_lshrrev_b16_e32 v31, 1, v63
	v_mul_u32_u24_e32 v34, 0x147b, v31
	v_lshrrev_b32_e32 v79, 17, v34
	v_mul_lo_u16_e32 v34, 50, v79
	v_sub_u16_e32 v80, v63, v34
	v_lshlrev_b32_e32 v34, 4, v80
	global_load_dwordx4 v[99:102], v34, s[8:9] offset:320
	v_lshrrev_b16_e32 v34, 1, v65
	;; [unrolled: 7-line block ×3, first 2 shown]
	v_mul_u32_u24_e32 v37, 0x147b, v35
	v_lshrrev_b32_e32 v83, 17, v37
	v_mul_lo_u16_e32 v37, 50, v83
	v_sub_u16_e32 v84, v69, v37
	v_lshlrev_b32_e32 v37, 4, v84
	v_lshrrev_b16_e32 v39, 1, v64
	global_load_dwordx4 v[107:110], v37, s[8:9] offset:320
	v_mul_u32_u24_e32 v37, 0x147b, v39
	v_lshrrev_b32_e32 v85, 17, v37
	v_mul_lo_u16_e32 v37, 50, v85
	v_sub_u16_e32 v86, v64, v37
	v_lshlrev_b32_e32 v37, 4, v86
	global_load_dwordx4 v[111:114], v37, s[8:9] offset:320
	v_lshrrev_b16_e32 v37, 1, v68
	v_mul_u32_u24_e32 v38, 0x147b, v37
	v_lshrrev_b32_e32 v131, 17, v38
	v_mul_lo_u16_e32 v38, 50, v131
	v_sub_u16_e32 v132, v68, v38
	v_lshlrev_b32_e32 v38, 4, v132
	global_load_dwordx4 v[115:118], v38, s[8:9] offset:320
	v_lshrrev_b16_e32 v38, 1, v71
	v_mul_u32_u24_e32 v60, 0x147b, v38
	v_lshrrev_b32_e32 v133, 17, v60
	v_mul_lo_u16_e32 v60, 50, v133
	v_sub_u16_e32 v134, v71, v60
	v_lshlrev_b32_e32 v60, 4, v134
	ds_read2_b32 v[127:128], v44 offset0:70 offset1:205
	ds_read2_b32 v[129:130], v45 offset0:12 offset1:147
	global_load_dwordx4 v[119:122], v60, s[8:9] offset:320
	v_lshrrev_b16_e32 v60, 1, v66
	v_mul_u32_u24_e32 v123, 0x147b, v60
	v_lshrrev_b32_e32 v136, 17, v123
	v_mul_lo_u16_e32 v123, 50, v136
	v_sub_u16_e32 v137, v66, v123
	v_lshlrev_b32_e32 v123, 4, v137
	global_load_dwordx4 v[123:126], v123, s[8:9] offset:320
	v_mul_u32_u24_e32 v38, 0xda75, v38
	v_mul_u32_u24_e32 v60, 0xda75, v60
	v_lshrrev_b32_e32 v60, 22, v60
	v_mul_lo_u16_e32 v60, 0x96, v60
	v_sub_u16_e32 v60, v66, v60
	s_waitcnt vmcnt(9) lgkmcnt(1)
	v_mul_f32_e32 v135, v127, v88
	v_fmac_f32_e32 v135, v18, v87
	v_mul_f32_e32 v18, v18, v88
	s_waitcnt lgkmcnt(0)
	v_mul_f32_e32 v88, v129, v90
	v_fmac_f32_e32 v88, v16, v89
	v_mul_f32_e32 v16, v16, v90
	v_fma_f32 v87, v127, v87, -v18
	v_fma_f32 v89, v129, v89, -v16
	s_waitcnt vmcnt(8)
	v_mul_f32_e32 v90, v128, v92
	v_fmac_f32_e32 v90, v19, v91
	v_mul_f32_e32 v16, v19, v92
	ds_read2_b32 v[18:19], v46 offset0:84 offset1:219
	v_fma_f32 v91, v128, v91, -v16
	v_mul_f32_e32 v92, v130, v94
	v_mul_f32_e32 v16, v17, v94
	v_fmac_f32_e32 v92, v17, v93
	v_fma_f32 v93, v130, v93, -v16
	ds_read2_b32 v[16:17], v47 offset0:26 offset1:161
	s_waitcnt vmcnt(7) lgkmcnt(1)
	v_mul_f32_e32 v94, v18, v96
	v_fmac_f32_e32 v94, v14, v95
	v_mul_f32_e32 v14, v14, v96
	v_fma_f32 v18, v18, v95, -v14
	s_waitcnt lgkmcnt(0)
	v_mul_f32_e32 v95, v16, v98
	v_fmac_f32_e32 v95, v12, v97
	v_mul_f32_e32 v12, v12, v98
	v_fma_f32 v16, v16, v97, -v12
	s_waitcnt vmcnt(6)
	v_mul_f32_e32 v12, v15, v100
	v_mul_f32_e32 v96, v19, v100
	v_fma_f32 v19, v19, v99, -v12
	v_mul_f32_e32 v97, v17, v102
	v_mul_f32_e32 v12, v13, v102
	v_fmac_f32_e32 v97, v13, v101
	v_fma_f32 v17, v17, v101, -v12
	ds_read2_b32 v[12:13], v57 offset0:40 offset1:175
	v_fmac_f32_e32 v96, v15, v99
	ds_read2_b32 v[14:15], v55 offset0:98 offset1:233
	s_waitcnt vmcnt(5) lgkmcnt(1)
	v_mul_f32_e32 v100, v12, v106
	v_fmac_f32_e32 v100, v8, v105
	s_waitcnt lgkmcnt(0)
	v_mul_f32_e32 v98, v14, v104
	v_mul_f32_e32 v8, v8, v106
	v_fmac_f32_e32 v98, v10, v103
	v_mul_f32_e32 v10, v10, v104
	v_fma_f32 v101, v12, v105, -v8
	s_waitcnt vmcnt(4)
	v_mul_f32_e32 v8, v11, v108
	v_fma_f32 v99, v14, v103, -v10
	v_mul_f32_e32 v102, v15, v108
	v_fma_f32 v15, v15, v107, -v8
	v_mul_f32_e32 v103, v13, v110
	v_mul_f32_e32 v8, v9, v110
	v_fmac_f32_e32 v103, v9, v109
	v_fma_f32 v127, v13, v109, -v8
	ds_read2_b32 v[8:9], v22 offset0:54 offset1:189
	v_fmac_f32_e32 v102, v11, v107
	ds_read2_b32 v[10:11], v23 offset0:112 offset1:247
	s_waitcnt vmcnt(3) lgkmcnt(1)
	v_mul_f32_e32 v130, v8, v114
	v_fmac_f32_e32 v130, v4, v113
	s_waitcnt lgkmcnt(0)
	v_mul_f32_e32 v128, v10, v112
	v_mul_f32_e32 v4, v4, v114
	v_fmac_f32_e32 v128, v6, v111
	v_mul_f32_e32 v6, v6, v112
	v_fma_f32 v8, v8, v113, -v4
	s_waitcnt vmcnt(2)
	v_mul_f32_e32 v138, v11, v116
	v_mul_f32_e32 v4, v7, v116
	v_fma_f32 v129, v10, v111, -v6
	v_fmac_f32_e32 v138, v7, v115
	v_fma_f32 v139, v11, v115, -v4
	v_mul_f32_e32 v140, v9, v118
	ds_read2_b32 v[6:7], v27 offset0:62 offset1:197
	v_mul_f32_e32 v4, v5, v118
	v_fmac_f32_e32 v140, v5, v117
	v_fma_f32 v141, v9, v117, -v4
	ds_read2_b32 v[4:5], v59 offset0:68 offset1:203
	s_waitcnt vmcnt(0) lgkmcnt(1)
	v_mul_f32_e32 v144, v7, v124
	v_fmac_f32_e32 v144, v3, v123
	v_mul_f32_e32 v3, v3, v124
	v_mul_f32_e32 v142, v6, v120
	s_waitcnt lgkmcnt(0)
	v_mul_f32_e32 v124, v5, v126
	v_mul_f32_e32 v143, v4, v122
	v_fmac_f32_e32 v124, v1, v125
	v_mul_f32_e32 v1, v1, v126
	v_fmac_f32_e32 v142, v2, v119
	;; [unrolled: 2-line block ×3, first 2 shown]
	v_mul_f32_e32 v0, v0, v122
	v_fma_f32 v1, v5, v125, -v1
	v_add_f32_e32 v5, v135, v88
	v_fma_f32 v2, v6, v119, -v2
	v_fma_f32 v0, v4, v121, -v0
	v_add_f32_e32 v4, v61, v135
	v_fmac_f32_e32 v61, -0.5, v5
	v_lshlrev_b32_sdwa v5, v29, v76 dst_sel:DWORD dst_unused:UNUSED_PAD src0_sel:DWORD src1_sel:BYTE_0
	v_mul_u32_u24_e32 v6, 0x258, v75
	v_add3_u32 v29, 0, v6, v5
	v_sub_f32_e32 v5, v87, v89
	v_mov_b32_e32 v6, v61
	v_add_f32_e32 v4, v4, v88
	v_fmac_f32_e32 v6, 0xbf5db3d7, v5
	v_fmac_f32_e32 v61, 0x3f5db3d7, v5
	v_add_f32_e32 v5, v90, v92
	ds_read_b32 v75, v48
	ds_read_b32 v76, v54
	;; [unrolled: 1-line block ×10, first 2 shown]
	s_waitcnt lgkmcnt(0)
	s_barrier
	ds_write2_b32 v29, v4, v6 offset1:50
	v_add_f32_e32 v4, v43, v90
	v_fmac_f32_e32 v43, -0.5, v5
	v_mul_u32_u24_e32 v5, 0x258, v73
	v_lshlrev_b32_e32 v6, 2, v74
	ds_write_b32 v29, v61 offset:400
	v_add3_u32 v61, 0, v5, v6
	v_sub_f32_e32 v5, v91, v93
	v_mov_b32_e32 v6, v43
	v_add_f32_e32 v4, v4, v92
	v_fmac_f32_e32 v6, 0xbf5db3d7, v5
	v_fmac_f32_e32 v43, 0x3f5db3d7, v5
	v_add_f32_e32 v5, v94, v95
	ds_write2_b32 v61, v4, v6 offset1:50
	v_add_f32_e32 v4, v41, v94
	v_fmac_f32_e32 v41, -0.5, v5
	v_mul_u32_u24_e32 v5, 0x258, v77
	v_lshlrev_b32_e32 v6, 2, v78
	ds_write_b32 v61, v43 offset:400
	v_add3_u32 v43, 0, v5, v6
	v_sub_f32_e32 v5, v18, v16
	v_mov_b32_e32 v6, v41
	v_add_f32_e32 v4, v4, v95
	v_fmac_f32_e32 v6, 0xbf5db3d7, v5
	v_fmac_f32_e32 v41, 0x3f5db3d7, v5
	v_add_f32_e32 v5, v96, v97
	;; [unrolled: 13-line block ×8, first 2 shown]
	v_fma_f32 v3, v7, v123, -v3
	ds_write2_b32 v32, v4, v6 offset1:50
	v_add_f32_e32 v4, v28, v144
	v_fmac_f32_e32 v28, -0.5, v5
	v_mul_u32_u24_e32 v5, 0x258, v136
	v_lshlrev_b32_e32 v6, 2, v137
	ds_write_b32 v32, v30 offset:400
	v_add3_u32 v30, 0, v5, v6
	v_sub_f32_e32 v5, v3, v1
	v_mov_b32_e32 v6, v28
	v_add_f32_e32 v4, v4, v124
	v_fmac_f32_e32 v6, 0xbf5db3d7, v5
	ds_write2_b32 v30, v4, v6 offset1:50
	v_add_f32_e32 v4, v75, v87
	v_add_f32_e32 v73, v4, v89
	;; [unrolled: 1-line block ×3, first 2 shown]
	v_fmac_f32_e32 v75, -0.5, v4
	v_fmac_f32_e32 v28, 0x3f5db3d7, v5
	v_sub_f32_e32 v74, v135, v88
	ds_write_b32 v30, v28 offset:400
	v_mov_b32_e32 v28, v75
	v_fmac_f32_e32 v28, 0x3f5db3d7, v74
	v_fmac_f32_e32 v75, 0xbf5db3d7, v74
	s_waitcnt lgkmcnt(0)
	s_barrier
	ds_read_b32 v14, v48
	ds_read_b32 v13, v54
	;; [unrolled: 1-line block ×10, first 2 shown]
	ds_read2_b32 v[104:105], v44 offset0:70 offset1:205
	ds_read2_b32 v[106:107], v45 offset0:12 offset1:147
	ds_read2_b32 v[108:109], v46 offset0:84 offset1:219
	ds_read2_b32 v[110:111], v47 offset0:26 offset1:161
	ds_read2_b32 v[112:113], v55 offset0:98 offset1:233
	ds_read2_b32 v[114:115], v57 offset0:40 offset1:175
	ds_read2_b32 v[116:117], v23 offset0:112 offset1:247
	ds_read2_b32 v[118:119], v22 offset0:54 offset1:189
	ds_read2_b32 v[120:121], v27 offset0:62 offset1:197
	ds_read2_b32 v[122:123], v59 offset0:68 offset1:203
	s_waitcnt lgkmcnt(0)
	s_barrier
	ds_write2_b32 v29, v73, v28 offset1:50
	ds_write_b32 v29, v75 offset:400
	v_add_f32_e32 v29, v91, v93
	v_add_f32_e32 v28, v76, v91
	v_fmac_f32_e32 v76, -0.5, v29
	v_sub_f32_e32 v29, v90, v92
	v_mov_b32_e32 v73, v76
	v_add_f32_e32 v28, v28, v93
	v_fmac_f32_e32 v73, 0x3f5db3d7, v29
	ds_write2_b32 v61, v28, v73 offset1:50
	v_add_f32_e32 v28, v125, v18
	v_add_f32_e32 v28, v28, v16
	;; [unrolled: 1-line block ×3, first 2 shown]
	v_fmac_f32_e32 v125, -0.5, v16
	v_sub_f32_e32 v16, v94, v95
	v_mov_b32_e32 v18, v125
	v_fmac_f32_e32 v18, 0x3f5db3d7, v16
	v_fmac_f32_e32 v125, 0xbf5db3d7, v16
	v_add_f32_e32 v16, v149, v19
	v_add_f32_e32 v16, v16, v17
	;; [unrolled: 1-line block ×3, first 2 shown]
	v_fmac_f32_e32 v76, 0xbf5db3d7, v29
	v_fmac_f32_e32 v149, -0.5, v17
	ds_write_b32 v61, v76 offset:400
	ds_write2_b32 v43, v28, v18 offset1:50
	v_sub_f32_e32 v17, v96, v97
	v_mov_b32_e32 v18, v149
	v_fmac_f32_e32 v18, 0x3f5db3d7, v17
	v_fmac_f32_e32 v149, 0xbf5db3d7, v17
	v_add_f32_e32 v17, v99, v101
	ds_write_b32 v43, v125 offset:400
	ds_write2_b32 v41, v16, v18 offset1:50
	v_add_f32_e32 v16, v148, v99
	v_fmac_f32_e32 v148, -0.5, v17
	v_sub_f32_e32 v17, v98, v100
	v_mov_b32_e32 v18, v148
	v_add_f32_e32 v16, v16, v101
	v_fmac_f32_e32 v18, 0x3f5db3d7, v17
	ds_write_b32 v41, v149 offset:400
	ds_write2_b32 v72, v16, v18 offset1:50
	v_add_f32_e32 v16, v126, v15
	v_add_f32_e32 v15, v15, v127
	v_fmac_f32_e32 v126, -0.5, v15
	v_fmac_f32_e32 v148, 0xbf5db3d7, v17
	v_sub_f32_e32 v15, v102, v103
	v_mov_b32_e32 v17, v126
	v_fmac_f32_e32 v17, 0x3f5db3d7, v15
	v_fmac_f32_e32 v126, 0xbf5db3d7, v15
	v_add_f32_e32 v15, v150, v129
	v_add_f32_e32 v15, v15, v8
	v_add_f32_e32 v8, v129, v8
	v_add_f32_e32 v16, v16, v127
	v_fmac_f32_e32 v150, -0.5, v8
	ds_write_b32 v72, v148 offset:400
	ds_write2_b32 v42, v16, v17 offset1:50
	v_sub_f32_e32 v8, v128, v130
	v_mov_b32_e32 v16, v150
	v_fmac_f32_e32 v16, 0x3f5db3d7, v8
	ds_write_b32 v42, v126 offset:400
	ds_write2_b32 v40, v15, v16 offset1:50
	v_add_f32_e32 v15, v139, v141
	v_fmac_f32_e32 v150, 0xbf5db3d7, v8
	v_add_f32_e32 v8, v145, v139
	v_fmac_f32_e32 v145, -0.5, v15
	v_sub_f32_e32 v15, v138, v140
	v_mov_b32_e32 v16, v145
	v_add_f32_e32 v8, v8, v141
	v_fmac_f32_e32 v16, 0x3f5db3d7, v15
	ds_write_b32 v40, v150 offset:400
	ds_write2_b32 v36, v8, v16 offset1:50
	v_add_f32_e32 v8, v146, v2
	v_add_f32_e32 v8, v8, v0
	;; [unrolled: 1-line block ×3, first 2 shown]
	v_fmac_f32_e32 v146, -0.5, v0
	v_sub_f32_e32 v0, v142, v143
	v_mov_b32_e32 v2, v146
	v_fmac_f32_e32 v2, 0x3f5db3d7, v0
	v_fmac_f32_e32 v146, 0xbf5db3d7, v0
	v_add_f32_e32 v0, v147, v3
	v_add_f32_e32 v0, v0, v1
	;; [unrolled: 1-line block ×3, first 2 shown]
	v_fmac_f32_e32 v147, -0.5, v1
	v_sub_f32_e32 v1, v144, v124
	v_mov_b32_e32 v3, v147
	v_fmac_f32_e32 v145, 0xbf5db3d7, v15
	v_fmac_f32_e32 v3, 0x3f5db3d7, v1
	;; [unrolled: 1-line block ×3, first 2 shown]
	ds_write_b32 v36, v145 offset:400
	ds_write2_b32 v32, v8, v2 offset1:50
	ds_write_b32 v32, v146 offset:400
	ds_write2_b32 v30, v0, v3 offset1:50
	ds_write_b32 v30, v147 offset:400
	v_lshlrev_b32_e32 v2, 1, v62
	v_mov_b32_e32 v3, 0
	v_lshlrev_b64 v[0:1], 3, v[2:3]
	v_mov_b32_e32 v8, s9
	v_add_co_u32_e64 v0, s[0:1], s8, v0
	v_addc_co_u32_e64 v1, s[0:1], v8, v1, s[0:1]
	v_add_u32_e32 v15, -15, v62
	v_cmp_gt_u32_e64 s[0:1], 15, v62
	v_cndmask_b32_e64 v15, v15, v67, s[0:1]
	v_lshlrev_b32_e32 v16, 1, v15
	v_mov_b32_e32 v17, v3
	v_lshlrev_b64 v[16:17], 3, v[16:17]
	s_waitcnt lgkmcnt(0)
	v_add_co_u32_e64 v16, s[0:1], s8, v16
	v_addc_co_u32_e64 v17, s[0:1], v8, v17, s[0:1]
	s_barrier
	global_load_dwordx4 v[72:75], v[16:17], off offset:1120
	v_mul_u32_u24_e32 v16, 0xda75, v33
	v_lshrrev_b32_e32 v16, 22, v16
	v_lshrrev_b32_e32 v127, 22, v38
	v_mul_lo_u16_e32 v17, 0x96, v16
	v_mul_lo_u16_e32 v38, 0x96, v127
	v_sub_u16_e32 v17, v70, v17
	v_sub_u16_e32 v128, v71, v38
	global_load_dwordx4 v[40:43], v[0:1], off offset:1120
	v_lshlrev_b32_e32 v18, 4, v17
	v_lshlrev_b32_e32 v38, 4, v128
	global_load_dwordx4 v[76:79], v18, s[8:9] offset:1120
	global_load_dwordx4 v[96:99], v38, s[8:9] offset:1120
	v_mul_u32_u24_e32 v18, 0xda75, v31
	v_lshrrev_b32_e32 v18, 22, v18
	v_mul_lo_u16_e32 v19, 0x96, v18
	v_sub_u16_e32 v19, v63, v19
	v_lshlrev_b32_e32 v28, 4, v19
	v_lshlrev_b32_e32 v100, 4, v60
	global_load_dwordx4 v[80:83], v28, s[8:9] offset:1120
	ds_read2_b32 v[124:125], v44 offset0:70 offset1:205
	global_load_dwordx4 v[100:103], v100, s[8:9] offset:1120
	v_mul_u32_u24_e32 v28, 0xda75, v34
	v_lshrrev_b32_e32 v28, 22, v28
	v_mul_lo_u16_e32 v29, 0x96, v28
	v_sub_u16_e32 v29, v65, v29
	v_lshlrev_b32_e32 v30, 4, v29
	global_load_dwordx4 v[84:87], v30, s[8:9] offset:1120
	v_mul_u32_u24_e32 v30, 0xda75, v35
	v_lshrrev_b32_e32 v30, 22, v30
	v_mul_lo_u16_e32 v31, 0x96, v30
	v_sub_u16_e32 v31, v69, v31
	v_lshlrev_b32_e32 v32, 4, v31
	;; [unrolled: 6-line block ×4, first 2 shown]
	global_load_dwordx4 v[34:37], v34, s[8:9] offset:1120
	ds_read2_b32 v[38:39], v45 offset0:12 offset1:147
	v_cmp_lt_u32_e64 s[0:1], 14, v62
	v_lshlrev_b32_e32 v15, 2, v15
	s_waitcnt vmcnt(8) lgkmcnt(1)
	v_mul_f32_e32 v129, v124, v41
	v_mul_f32_e32 v41, v104, v41
	v_fmac_f32_e32 v129, v104, v40
	v_fma_f32 v104, v124, v40, -v41
	s_waitcnt lgkmcnt(0)
	v_mul_f32_e32 v124, v38, v43
	v_mul_f32_e32 v40, v106, v43
	v_fmac_f32_e32 v124, v106, v42
	v_fma_f32 v42, v38, v42, -v40
	v_mul_f32_e32 v43, v125, v73
	v_mul_f32_e32 v38, v105, v73
	v_fmac_f32_e32 v43, v105, v72
	v_fma_f32 v72, v125, v72, -v38
	v_mul_f32_e32 v73, v39, v75
	ds_read2_b32 v[40:41], v46 offset0:84 offset1:219
	v_mul_f32_e32 v38, v107, v75
	v_fmac_f32_e32 v73, v107, v74
	v_fma_f32 v74, v39, v74, -v38
	ds_read2_b32 v[38:39], v47 offset0:26 offset1:161
	s_waitcnt vmcnt(7) lgkmcnt(1)
	v_mul_f32_e32 v75, v40, v77
	v_mul_f32_e32 v77, v108, v77
	v_fmac_f32_e32 v75, v108, v76
	v_fma_f32 v76, v40, v76, -v77
	s_waitcnt lgkmcnt(0)
	v_mul_f32_e32 v77, v38, v79
	v_mul_f32_e32 v40, v110, v79
	v_fmac_f32_e32 v77, v110, v78
	v_fma_f32 v78, v38, v78, -v40
	s_waitcnt vmcnt(5)
	v_mul_f32_e32 v79, v41, v81
	v_mul_f32_e32 v38, v109, v81
	v_fmac_f32_e32 v79, v109, v80
	v_fma_f32 v80, v41, v80, -v38
	v_mul_f32_e32 v81, v39, v83
	ds_read2_b32 v[40:41], v55 offset0:98 offset1:233
	v_mul_f32_e32 v38, v111, v83
	v_fmac_f32_e32 v81, v111, v82
	v_fma_f32 v82, v39, v82, -v38
	ds_read2_b32 v[38:39], v57 offset0:40 offset1:175
	s_waitcnt vmcnt(3) lgkmcnt(1)
	v_mul_f32_e32 v83, v40, v85
	v_mul_f32_e32 v85, v112, v85
	v_fmac_f32_e32 v83, v112, v84
	v_fma_f32 v84, v40, v84, -v85
	s_waitcnt lgkmcnt(0)
	v_mul_f32_e32 v85, v38, v87
	v_mul_f32_e32 v40, v114, v87
	v_fmac_f32_e32 v85, v114, v86
	v_fma_f32 v86, v38, v86, -v40
	s_waitcnt vmcnt(2)
	v_mul_f32_e32 v87, v41, v89
	v_mul_f32_e32 v38, v113, v89
	v_fmac_f32_e32 v87, v113, v88
	v_fma_f32 v88, v41, v88, -v38
	ds_read2_b32 v[40:41], v23 offset0:112 offset1:247
	v_mul_f32_e32 v89, v39, v91
	v_mul_f32_e32 v38, v115, v91
	v_fmac_f32_e32 v89, v115, v90
	v_fma_f32 v90, v39, v90, -v38
	ds_read2_b32 v[38:39], v22 offset0:54 offset1:189
	s_waitcnt vmcnt(1) lgkmcnt(1)
	v_mul_f32_e32 v91, v40, v93
	v_mul_f32_e32 v93, v116, v93
	v_fma_f32 v40, v40, v92, -v93
	v_mul_f32_e32 v93, v118, v95
	v_fmac_f32_e32 v91, v116, v92
	s_waitcnt lgkmcnt(0)
	v_mul_f32_e32 v92, v38, v95
	v_fma_f32 v38, v38, v94, -v93
	s_waitcnt vmcnt(0)
	v_mul_f32_e32 v93, v41, v35
	v_mul_f32_e32 v35, v117, v35
	v_fmac_f32_e32 v93, v117, v34
	v_fma_f32 v41, v41, v34, -v35
	ds_read2_b32 v[34:35], v27 offset0:62 offset1:197
	v_fmac_f32_e32 v92, v118, v94
	v_mul_f32_e32 v94, v39, v37
	v_mul_f32_e32 v37, v119, v37
	v_fmac_f32_e32 v94, v119, v36
	v_fma_f32 v39, v39, v36, -v37
	ds_read2_b32 v[36:37], v59 offset0:68 offset1:203
	s_waitcnt lgkmcnt(1)
	v_mul_f32_e32 v95, v34, v97
	v_mul_f32_e32 v97, v120, v97
	v_fmac_f32_e32 v95, v120, v96
	v_fma_f32 v34, v34, v96, -v97
	v_mul_f32_e32 v96, v122, v99
	s_waitcnt lgkmcnt(0)
	v_mul_f32_e32 v114, v36, v99
	v_fma_f32 v36, v36, v98, -v96
	v_mul_f32_e32 v96, v121, v101
	v_mul_f32_e32 v115, v35, v101
	v_fma_f32 v35, v35, v100, -v96
	v_mul_f32_e32 v96, v123, v103
	v_add_f32_e32 v97, v129, v124
	v_mul_f32_e32 v116, v37, v103
	v_fma_f32 v37, v37, v102, -v96
	v_add_f32_e32 v96, v14, v129
	v_fmac_f32_e32 v14, -0.5, v97
	v_sub_f32_e32 v97, v104, v42
	v_fmac_f32_e32 v114, v122, v98
	v_mov_b32_e32 v98, v14
	v_fmac_f32_e32 v14, 0x3f5db3d7, v97
	v_fmac_f32_e32 v115, v121, v100
	;; [unrolled: 1-line block ×3, first 2 shown]
	v_add_f32_e32 v96, v96, v124
	v_fmac_f32_e32 v98, 0xbf5db3d7, v97
	ds_read_b32 v117, v48
	ds_read_b32 v118, v54
	;; [unrolled: 1-line block ×10, first 2 shown]
	s_waitcnt lgkmcnt(0)
	s_barrier
	v_add_f32_e32 v97, v43, v73
	ds_write_b32 v48, v14 offset:1200
	v_mov_b32_e32 v14, 0x708
	ds_write2_b32 v48, v96, v98 offset1:150
	v_add_f32_e32 v96, v13, v43
	v_fmac_f32_e32 v13, -0.5, v97
	v_cndmask_b32_e64 v14, 0, v14, s[0:1]
	v_add3_u32 v132, 0, v14, v15
	v_add_f32_e32 v14, v96, v73
	v_sub_f32_e32 v15, v72, v74
	v_mov_b32_e32 v96, v13
	v_fmac_f32_e32 v96, 0xbf5db3d7, v15
	v_fmac_f32_e32 v13, 0x3f5db3d7, v15
	v_add_f32_e32 v15, v75, v77
	ds_write2_b32 v132, v14, v96 offset1:150
	v_add_f32_e32 v14, v11, v75
	v_fmac_f32_e32 v11, -0.5, v15
	ds_write_b32 v132, v13 offset:1200
	v_mul_u32_u24_e32 v13, 0x708, v16
	v_lshlrev_b32_e32 v15, 2, v17
	v_add3_u32 v133, 0, v13, v15
	v_add_f32_e32 v13, v14, v77
	v_sub_f32_e32 v14, v76, v78
	v_mov_b32_e32 v15, v11
	v_fmac_f32_e32 v15, 0xbf5db3d7, v14
	v_fmac_f32_e32 v11, 0x3f5db3d7, v14
	v_add_f32_e32 v14, v79, v81
	ds_write2_b32 v133, v13, v15 offset1:150
	v_add_f32_e32 v13, v12, v79
	v_fmac_f32_e32 v12, -0.5, v14
	ds_write_b32 v133, v11 offset:1200
	v_mul_u32_u24_e32 v11, 0x708, v18
	v_lshlrev_b32_e32 v14, 2, v19
	;; [unrolled: 13-line block ×3, first 2 shown]
	v_add3_u32 v28, 0, v12, v13
	v_sub_f32_e32 v12, v84, v86
	v_mov_b32_e32 v13, v10
	v_add_f32_e32 v11, v11, v85
	v_fmac_f32_e32 v13, 0xbf5db3d7, v12
	v_fmac_f32_e32 v10, 0x3f5db3d7, v12
	v_add_f32_e32 v12, v87, v89
	ds_write2_b32 v28, v11, v13 offset1:150
	v_add_f32_e32 v11, v9, v87
	v_fmac_f32_e32 v9, -0.5, v12
	ds_write_b32 v28, v10 offset:1200
	v_mul_u32_u24_e32 v10, 0x708, v30
	v_lshlrev_b32_e32 v12, 2, v31
	v_add3_u32 v29, 0, v10, v12
	v_add_f32_e32 v10, v11, v89
	v_sub_f32_e32 v11, v88, v90
	v_mov_b32_e32 v12, v9
	v_fmac_f32_e32 v12, 0xbf5db3d7, v11
	v_fmac_f32_e32 v9, 0x3f5db3d7, v11
	v_add_f32_e32 v11, v91, v92
	ds_write2_b32 v29, v10, v12 offset1:150
	v_add_f32_e32 v10, v7, v91
	v_fmac_f32_e32 v7, -0.5, v11
	ds_write_b32 v29, v9 offset:1200
	v_mul_u32_u24_e32 v9, 0x708, v32
	v_lshlrev_b32_e32 v11, 2, v33
	v_add3_u32 v30, 0, v9, v11
	v_add_f32_e32 v9, v10, v92
	v_sub_f32_e32 v10, v40, v38
	v_mov_b32_e32 v11, v7
	v_fmac_f32_e32 v11, 0xbf5db3d7, v10
	v_fmac_f32_e32 v7, 0x3f5db3d7, v10
	v_add_f32_e32 v10, v93, v94
	ds_write2_b32 v30, v9, v11 offset1:150
	v_add_f32_e32 v9, v6, v93
	v_fmac_f32_e32 v6, -0.5, v10
	ds_write_b32 v30, v7 offset:1200
	v_mul_u32_u24_e32 v7, 0x708, v61
	v_lshlrev_b32_e32 v10, 2, v126
	v_add3_u32 v7, 0, v7, v10
	v_sub_f32_e32 v10, v41, v39
	v_mov_b32_e32 v11, v6
	v_add_f32_e32 v9, v9, v94
	v_fmac_f32_e32 v11, 0xbf5db3d7, v10
	v_fmac_f32_e32 v6, 0x3f5db3d7, v10
	v_add_f32_e32 v10, v95, v114
	ds_write2_b32 v7, v9, v11 offset1:150
	v_add_f32_e32 v9, v5, v95
	v_fmac_f32_e32 v5, -0.5, v10
	ds_write_b32 v7, v6 offset:1200
	v_mul_u32_u24_e32 v6, 0x708, v127
	v_lshlrev_b32_e32 v10, 2, v128
	v_add3_u32 v6, 0, v6, v10
	v_sub_f32_e32 v10, v34, v36
	v_mov_b32_e32 v11, v5
	v_add_f32_e32 v9, v9, v114
	v_fmac_f32_e32 v11, 0xbf5db3d7, v10
	v_fmac_f32_e32 v5, 0x3f5db3d7, v10
	v_add_f32_e32 v10, v115, v116
	ds_write2_b32 v6, v9, v11 offset1:150
	v_add_f32_e32 v9, v4, v115
	v_fmac_f32_e32 v4, -0.5, v10
	ds_write_b32 v6, v5 offset:1200
	v_add_f32_e32 v5, v9, v116
	v_sub_f32_e32 v9, v35, v37
	v_mov_b32_e32 v10, v4
	v_lshl_add_u32 v31, v60, 2, 0
	v_fmac_f32_e32 v10, 0xbf5db3d7, v9
	v_add_u32_e32 v32, 0x3800, v31
	ds_write2_b32 v32, v5, v10 offset0:16 offset1:166
	v_add_f32_e32 v10, v104, v42
	v_add_f32_e32 v5, v117, v104
	v_fmac_f32_e32 v117, -0.5, v10
	v_fmac_f32_e32 v4, 0x3f5db3d7, v9
	v_sub_f32_e32 v33, v129, v124
	ds_write_b32 v31, v4 offset:15600
	v_mov_b32_e32 v4, v117
	v_add_f32_e32 v5, v5, v42
	v_fmac_f32_e32 v4, 0x3f5db3d7, v33
	s_waitcnt lgkmcnt(0)
	s_barrier
	ds_read_b32 v17, v48
	ds_read_b32 v16, v54
	;; [unrolled: 1-line block ×10, first 2 shown]
	ds_read2_b32 v[60:61], v44 offset0:70 offset1:205
	ds_read2_b32 v[96:97], v45 offset0:12 offset1:147
	;; [unrolled: 1-line block ×10, first 2 shown]
	s_waitcnt lgkmcnt(0)
	s_barrier
	ds_write2_b32 v48, v5, v4 offset1:150
	v_add_f32_e32 v5, v72, v74
	v_add_f32_e32 v4, v118, v72
	v_fmac_f32_e32 v118, -0.5, v5
	v_fmac_f32_e32 v117, 0xbf5db3d7, v33
	v_sub_f32_e32 v5, v43, v73
	v_mov_b32_e32 v33, v118
	v_add_f32_e32 v4, v4, v74
	v_fmac_f32_e32 v33, 0x3f5db3d7, v5
	v_fmac_f32_e32 v118, 0xbf5db3d7, v5
	v_add_f32_e32 v5, v76, v78
	ds_write_b32 v48, v117 offset:1200
	ds_write2_b32 v132, v4, v33 offset1:150
	v_add_f32_e32 v4, v119, v76
	v_fmac_f32_e32 v119, -0.5, v5
	v_sub_f32_e32 v5, v75, v77
	v_mov_b32_e32 v33, v119
	v_add_f32_e32 v4, v4, v78
	v_fmac_f32_e32 v33, 0x3f5db3d7, v5
	v_fmac_f32_e32 v119, 0xbf5db3d7, v5
	v_add_f32_e32 v5, v80, v82
	ds_write_b32 v132, v118 offset:1200
	ds_write2_b32 v133, v4, v33 offset1:150
	v_add_f32_e32 v4, v130, v80
	v_fmac_f32_e32 v130, -0.5, v5
	;; [unrolled: 10-line block ×3, first 2 shown]
	ds_write_b32 v19, v130 offset:1200
	v_sub_f32_e32 v5, v83, v85
	v_mov_b32_e32 v19, v125
	v_add_f32_e32 v4, v4, v86
	v_fmac_f32_e32 v19, 0x3f5db3d7, v5
	v_fmac_f32_e32 v125, 0xbf5db3d7, v5
	v_add_f32_e32 v5, v88, v90
	ds_write2_b32 v28, v4, v19 offset1:150
	v_add_f32_e32 v4, v120, v88
	v_fmac_f32_e32 v120, -0.5, v5
	v_sub_f32_e32 v5, v87, v89
	v_mov_b32_e32 v19, v120
	v_add_f32_e32 v4, v4, v90
	v_fmac_f32_e32 v19, 0x3f5db3d7, v5
	v_fmac_f32_e32 v120, 0xbf5db3d7, v5
	v_add_f32_e32 v5, v40, v38
	ds_write_b32 v28, v125 offset:1200
	ds_write2_b32 v29, v4, v19 offset1:150
	v_add_f32_e32 v4, v131, v40
	v_fmac_f32_e32 v131, -0.5, v5
	v_sub_f32_e32 v5, v91, v92
	v_mov_b32_e32 v19, v131
	v_add_f32_e32 v4, v4, v38
	v_fmac_f32_e32 v19, 0x3f5db3d7, v5
	v_fmac_f32_e32 v131, 0xbf5db3d7, v5
	v_add_f32_e32 v5, v41, v39
	ds_write_b32 v29, v120 offset:1200
	ds_write2_b32 v30, v4, v19 offset1:150
	v_add_f32_e32 v4, v121, v41
	v_fmac_f32_e32 v121, -0.5, v5
	v_sub_f32_e32 v5, v93, v94
	v_mov_b32_e32 v19, v121
	v_add_f32_e32 v28, v34, v36
	v_fmac_f32_e32 v19, 0x3f5db3d7, v5
	v_fmac_f32_e32 v121, 0xbf5db3d7, v5
	v_add_f32_e32 v5, v122, v34
	v_fmac_f32_e32 v122, -0.5, v28
	ds_write_b32 v30, v131 offset:1200
	v_sub_f32_e32 v28, v95, v114
	v_mov_b32_e32 v29, v122
	v_add_f32_e32 v30, v35, v37
	v_fmac_f32_e32 v29, 0x3f5db3d7, v28
	v_fmac_f32_e32 v122, 0xbf5db3d7, v28
	v_add_f32_e32 v28, v123, v35
	v_fmac_f32_e32 v123, -0.5, v30
	v_add_f32_e32 v4, v4, v39
	v_add_f32_e32 v5, v5, v36
	v_sub_f32_e32 v30, v115, v116
	v_mov_b32_e32 v33, v123
	v_add_f32_e32 v28, v28, v37
	v_fmac_f32_e32 v33, 0x3f5db3d7, v30
	v_fmac_f32_e32 v123, 0xbf5db3d7, v30
	ds_write2_b32 v7, v4, v19 offset1:150
	ds_write_b32 v7, v121 offset:1200
	ds_write2_b32 v6, v5, v29 offset1:150
	ds_write_b32 v6, v122 offset:1200
	ds_write2_b32 v32, v28, v33 offset0:16 offset1:166
	ds_write_b32 v31, v123 offset:15600
	v_lshlrev_b32_e32 v4, 1, v67
	v_mov_b32_e32 v5, v3
	v_lshlrev_b64 v[4:5], 3, v[4:5]
	v_lshlrev_b32_e32 v6, 1, v70
	v_mov_b32_e32 v7, v3
	v_add_co_u32_e64 v4, s[0:1], s8, v4
	v_lshlrev_b64 v[6:7], 3, v[6:7]
	s_waitcnt lgkmcnt(0)
	s_barrier
	global_load_dwordx4 v[28:31], v[0:1], off offset:3520
	v_addc_co_u32_e64 v5, s[0:1], v8, v5, s[0:1]
	global_load_dwordx4 v[32:35], v[4:5], off offset:3520
	v_add_co_u32_e64 v6, s[0:1], s8, v6
	v_addc_co_u32_e64 v7, s[0:1], v8, v7, s[0:1]
	v_subrev_u32_e32 v19, 45, v62
	v_cmp_gt_u32_e64 s[0:1], 45, v62
	v_cndmask_b32_e64 v19, v19, v63, s[0:1]
	v_lshlrev_b32_e32 v40, 1, v19
	v_mov_b32_e32 v41, v3
	v_lshlrev_b64 v[40:41], 3, v[40:41]
	global_load_dwordx4 v[36:39], v[6:7], off offset:3520
	v_add_co_u32_e64 v40, s[0:1], s8, v40
	v_addc_co_u32_e64 v41, s[0:1], v8, v41, s[0:1]
	global_load_dwordx4 v[40:43], v[40:41], off offset:3520
	v_add_u32_e32 v72, 0xb4, v2
	v_mov_b32_e32 v73, v3
	v_lshlrev_b64 v[72:73], 3, v[72:73]
	v_add_u32_e32 v2, 0x1c2, v2
	v_add_co_u32_e64 v72, s[0:1], s8, v72
	v_lshlrev_b64 v[76:77], 3, v[2:3]
	v_addc_co_u32_e64 v73, s[0:1], v8, v73, s[0:1]
	global_load_dwordx4 v[72:75], v[72:73], off offset:3520
	v_add_co_u32_e64 v76, s[0:1], s8, v76
	v_addc_co_u32_e64 v77, s[0:1], v8, v77, s[0:1]
	global_load_dwordx4 v[76:79], v[76:77], off offset:3520
	s_mov_b32 s1, 0x91a3
	s_movk_i32 s0, 0x1c2
	v_mul_u32_u24_sdwa v2, v64, s1 dst_sel:DWORD dst_unused:UNUSED_PAD src0_sel:WORD_0 src1_sel:DWORD
	v_mul_lo_u16_sdwa v8, v2, s0 dst_sel:DWORD dst_unused:UNUSED_PAD src0_sel:BYTE_3 src1_sel:DWORD
	v_sub_u16_e32 v8, v64, v8
	v_mul_u32_u24_sdwa v84, v68, s1 dst_sel:DWORD dst_unused:UNUSED_PAD src0_sel:WORD_0 src1_sel:DWORD
	v_lshlrev_b32_e32 v80, 4, v8
	v_mul_lo_u16_sdwa v84, v84, s0 dst_sel:DWORD dst_unused:UNUSED_PAD src0_sel:BYTE_3 src1_sel:DWORD
	global_load_dwordx4 v[80:83], v80, s[8:9] offset:3520
	v_sub_u16_e32 v118, v68, v84
	v_lshlrev_b32_e32 v84, 4, v118
	global_load_dwordx4 v[84:87], v84, s[8:9] offset:3520
	v_mul_u32_u24_sdwa v88, v71, s1 dst_sel:DWORD dst_unused:UNUSED_PAD src0_sel:WORD_0 src1_sel:DWORD
	v_mul_lo_u16_sdwa v88, v88, s0 dst_sel:DWORD dst_unused:UNUSED_PAD src0_sel:BYTE_3 src1_sel:DWORD
	v_sub_u16_e32 v119, v71, v88
	v_mul_u32_u24_sdwa v92, v66, s1 dst_sel:DWORD dst_unused:UNUSED_PAD src0_sel:WORD_0 src1_sel:DWORD
	v_lshlrev_b32_e32 v88, 4, v119
	v_mul_lo_u16_sdwa v92, v92, s0 dst_sel:DWORD dst_unused:UNUSED_PAD src0_sel:BYTE_3 src1_sel:DWORD
	global_load_dwordx4 v[88:91], v88, s[8:9] offset:3520
	v_sub_u16_e32 v121, v66, v92
	v_lshlrev_b32_e32 v92, 4, v121
	global_load_dwordx4 v[92:95], v92, s[8:9] offset:3520
	ds_read2_b32 v[114:115], v44 offset0:70 offset1:205
	ds_read2_b32 v[116:117], v45 offset0:12 offset1:147
	v_cmp_lt_u32_e64 s[0:1], 44, v62
	v_lshlrev_b32_e32 v8, 2, v8
	s_waitcnt vmcnt(9) lgkmcnt(1)
	v_mul_f32_e32 v120, v114, v29
	v_mul_f32_e32 v29, v60, v29
	v_fmac_f32_e32 v120, v60, v28
	v_fma_f32 v60, v114, v28, -v29
	s_waitcnt lgkmcnt(0)
	v_mul_f32_e32 v114, v116, v31
	v_mul_f32_e32 v28, v96, v31
	v_fmac_f32_e32 v114, v96, v30
	v_fma_f32 v96, v116, v30, -v28
	s_waitcnt vmcnt(8)
	v_mul_f32_e32 v116, v115, v33
	v_mul_f32_e32 v28, v61, v33
	v_fmac_f32_e32 v116, v61, v32
	v_fma_f32 v32, v115, v32, -v28
	v_mul_f32_e32 v33, v117, v35
	ds_read2_b32 v[28:29], v46 offset0:84 offset1:219
	v_mul_f32_e32 v30, v97, v35
	v_fmac_f32_e32 v33, v97, v34
	v_fma_f32 v34, v117, v34, -v30
	ds_read2_b32 v[30:31], v47 offset0:26 offset1:161
	s_waitcnt vmcnt(7) lgkmcnt(1)
	v_mul_f32_e32 v97, v28, v37
	v_mul_f32_e32 v35, v98, v37
	v_fmac_f32_e32 v97, v98, v36
	v_fma_f32 v98, v28, v36, -v35
	s_waitcnt lgkmcnt(0)
	v_mul_f32_e32 v115, v30, v39
	v_mul_f32_e32 v28, v100, v39
	v_fmac_f32_e32 v115, v100, v38
	v_fma_f32 v100, v30, v38, -v28
	s_waitcnt vmcnt(6)
	v_mul_f32_e32 v117, v29, v41
	v_mul_f32_e32 v28, v99, v41
	v_fmac_f32_e32 v117, v99, v40
	v_fma_f32 v99, v29, v40, -v28
	v_mul_f32_e32 v122, v31, v43
	ds_read2_b32 v[28:29], v55 offset0:98 offset1:233
	v_mul_f32_e32 v30, v101, v43
	v_fmac_f32_e32 v122, v101, v42
	v_fma_f32 v101, v31, v42, -v30
	ds_read2_b32 v[30:31], v57 offset0:40 offset1:175
	;; [unrolled: 21-line block ×4, first 2 shown]
	s_waitcnt vmcnt(1) lgkmcnt(1)
	v_mul_f32_e32 v87, v28, v89
	v_mul_f32_e32 v35, v110, v89
	v_fmac_f32_e32 v87, v110, v88
	v_fma_f32 v88, v28, v88, -v35
	s_waitcnt lgkmcnt(0)
	v_mul_f32_e32 v89, v30, v91
	v_mul_f32_e32 v28, v112, v91
	v_fmac_f32_e32 v89, v112, v90
	v_fma_f32 v90, v30, v90, -v28
	s_waitcnt vmcnt(0)
	v_mul_f32_e32 v91, v29, v93
	v_mul_f32_e32 v28, v111, v93
	v_fmac_f32_e32 v91, v111, v92
	v_fma_f32 v92, v29, v92, -v28
	v_mul_f32_e32 v93, v31, v95
	v_mul_f32_e32 v28, v113, v95
	v_add_f32_e32 v29, v120, v114
	v_fmac_f32_e32 v93, v113, v94
	v_fma_f32 v94, v31, v94, -v28
	v_add_f32_e32 v28, v17, v120
	v_fmac_f32_e32 v17, -0.5, v29
	v_sub_f32_e32 v29, v60, v96
	v_mov_b32_e32 v30, v17
	v_add_f32_e32 v31, v116, v33
	v_fmac_f32_e32 v30, 0xbf5db3d7, v29
	v_fmac_f32_e32 v17, 0x3f5db3d7, v29
	v_add_f32_e32 v29, v16, v116
	v_fmac_f32_e32 v16, -0.5, v31
	v_sub_f32_e32 v31, v32, v34
	v_mov_b32_e32 v35, v16
	v_add_f32_e32 v36, v97, v115
	v_add_f32_e32 v28, v28, v114
	v_fmac_f32_e32 v35, 0xbf5db3d7, v31
	v_fmac_f32_e32 v16, 0x3f5db3d7, v31
	v_add_f32_e32 v31, v15, v97
	v_fmac_f32_e32 v15, -0.5, v36
	v_sub_f32_e32 v36, v98, v100
	ds_read_b32 v95, v48
	ds_read_b32 v105, v54
	;; [unrolled: 1-line block ×10, first 2 shown]
	s_waitcnt lgkmcnt(0)
	s_barrier
	ds_write_b32 v48, v28
	ds_write_b32 v48, v30 offset:1800
	ds_write_b32 v48, v17 offset:3600
	v_add_f32_e32 v17, v29, v33
	v_mov_b32_e32 v37, v15
	v_fmac_f32_e32 v15, 0x3f5db3d7, v36
	ds_write_b32 v54, v17
	ds_write_b32 v54, v35 offset:1800
	ds_write_b32 v54, v16 offset:3600
	v_add_f32_e32 v16, v31, v115
	v_fmac_f32_e32 v37, 0xbf5db3d7, v36
	v_add_f32_e32 v38, v117, v122
	ds_write_b32 v53, v16
	ds_write_b32 v53, v37 offset:1800
	ds_write_b32 v53, v15 offset:3600
	v_mov_b32_e32 v15, 0x1518
	v_add_f32_e32 v36, v18, v117
	v_fmac_f32_e32 v18, -0.5, v38
	v_sub_f32_e32 v38, v99, v101
	v_cndmask_b32_e64 v15, 0, v15, s[0:1]
	v_lshlrev_b32_e32 v16, 2, v19
	v_mov_b32_e32 v39, v18
	v_fmac_f32_e32 v18, 0x3f5db3d7, v38
	v_add3_u32 v15, 0, v15, v16
	v_add_f32_e32 v16, v36, v122
	v_fmac_f32_e32 v39, 0xbf5db3d7, v38
	ds_write_b32 v15, v16
	ds_write_b32 v15, v39 offset:1800
	ds_write_b32 v15, v18 offset:3600
	v_add_f32_e32 v16, v14, v123
	v_add_f32_e32 v17, v13, v125
	v_lshl_add_u32 v18, v62, 2, 0
	v_add_f32_e32 v16, v16, v124
	v_add_f32_e32 v17, v17, v126
	v_add_u32_e32 v19, 0x1600, v18
	ds_write2_b32 v19, v16, v17 offset0:32 offset1:167
	v_add_f32_e32 v16, v123, v124
	v_fmac_f32_e32 v14, -0.5, v16
	v_add_f32_e32 v16, v125, v126
	v_fmac_f32_e32 v13, -0.5, v16
	v_sub_f32_e32 v16, v102, v104
	v_mov_b32_e32 v17, v14
	v_sub_f32_e32 v28, v103, v78
	v_fmac_f32_e32 v17, 0xbf5db3d7, v16
	v_mov_b32_e32 v29, v13
	v_fmac_f32_e32 v14, 0x3f5db3d7, v16
	v_fmac_f32_e32 v13, 0x3f5db3d7, v28
	v_add_u32_e32 v16, 0x2400, v18
	ds_write2_b32 v16, v14, v13 offset0:36 offset1:171
	v_add_f32_e32 v14, v60, v96
	v_fmac_f32_e32 v29, 0xbf5db3d7, v28
	v_add_u32_e32 v127, 0x1c00, v18
	v_add_f32_e32 v13, v95, v60
	v_fmac_f32_e32 v95, -0.5, v14
	ds_write2_b32 v127, v17, v29 offset0:98 offset1:233
	v_sub_f32_e32 v14, v120, v114
	v_mov_b32_e32 v17, v95
	v_add_f32_e32 v18, v32, v34
	v_fmac_f32_e32 v17, 0x3f5db3d7, v14
	v_fmac_f32_e32 v95, 0xbf5db3d7, v14
	v_add_f32_e32 v14, v105, v32
	v_fmac_f32_e32 v105, -0.5, v18
	v_add_f32_e32 v13, v13, v96
	v_sub_f32_e32 v18, v116, v33
	v_mov_b32_e32 v96, v105
	v_add_f32_e32 v28, v79, v81
	v_fmac_f32_e32 v96, 0x3f5db3d7, v18
	v_fmac_f32_e32 v105, 0xbf5db3d7, v18
	v_add_f32_e32 v18, v12, v79
	v_fmac_f32_e32 v12, -0.5, v28
	v_sub_f32_e32 v28, v80, v82
	v_mov_b32_e32 v29, v12
	v_add_f32_e32 v30, v83, v85
	v_fmac_f32_e32 v29, 0xbf5db3d7, v28
	v_fmac_f32_e32 v12, 0x3f5db3d7, v28
	v_add_f32_e32 v28, v11, v83
	v_fmac_f32_e32 v11, -0.5, v30
	v_sub_f32_e32 v30, v84, v86
	v_mov_b32_e32 v31, v11
	v_add_f32_e32 v32, v87, v89
	s_movk_i32 s0, 0x1518
	v_fmac_f32_e32 v31, 0xbf5db3d7, v30
	v_fmac_f32_e32 v11, 0x3f5db3d7, v30
	v_add_f32_e32 v30, v10, v87
	v_fmac_f32_e32 v10, -0.5, v32
	v_mul_u32_u24_sdwa v2, v2, s0 dst_sel:DWORD dst_unused:UNUSED_PAD src0_sel:BYTE_3 src1_sel:DWORD
	v_add_f32_e32 v14, v14, v34
	v_sub_f32_e32 v32, v88, v90
	v_mov_b32_e32 v33, v10
	v_add_f32_e32 v34, v91, v93
	v_add3_u32 v2, 0, v2, v8
	v_add_f32_e32 v8, v18, v81
	v_fmac_f32_e32 v33, 0xbf5db3d7, v32
	v_fmac_f32_e32 v10, 0x3f5db3d7, v32
	v_add_f32_e32 v32, v9, v91
	v_fmac_f32_e32 v9, -0.5, v34
	ds_write_b32 v2, v8
	ds_write_b32 v2, v29 offset:1800
	ds_write_b32 v2, v12 offset:3600
	v_add_f32_e32 v8, v28, v85
	v_lshl_add_u32 v114, v118, 2, 0
	v_sub_f32_e32 v34, v92, v94
	v_mov_b32_e32 v35, v9
	ds_write_b32 v114, v8 offset:10800
	ds_write_b32 v114, v31 offset:12600
	;; [unrolled: 1-line block ×3, first 2 shown]
	v_add_f32_e32 v8, v30, v89
	v_lshl_add_u32 v116, v119, 2, 0
	v_fmac_f32_e32 v35, 0xbf5db3d7, v34
	v_fmac_f32_e32 v9, 0x3f5db3d7, v34
	ds_write_b32 v116, v8 offset:10800
	ds_write_b32 v116, v33 offset:12600
	;; [unrolled: 1-line block ×3, first 2 shown]
	v_add_f32_e32 v8, v32, v93
	v_lshl_add_u32 v118, v121, 2, 0
	ds_write_b32 v118, v8 offset:10800
	ds_write_b32 v118, v35 offset:12600
	;; [unrolled: 1-line block ×3, first 2 shown]
	s_waitcnt lgkmcnt(0)
	s_barrier
	ds_read_b32 v60, v48
	ds_read_b32 v61, v54
	;; [unrolled: 1-line block ×10, first 2 shown]
	ds_read2_b32 v[30:31], v44 offset0:70 offset1:205
	ds_read2_b32 v[28:29], v45 offset0:12 offset1:147
	;; [unrolled: 1-line block ×10, first 2 shown]
	s_waitcnt lgkmcnt(0)
	s_barrier
	ds_write_b32 v48, v13
	ds_write_b32 v48, v17 offset:1800
	ds_write_b32 v48, v95 offset:3600
	ds_write_b32 v54, v14
	ds_write_b32 v54, v96 offset:1800
	ds_write_b32 v54, v105 offset:3600
	v_add_f32_e32 v14, v98, v100
	v_add_f32_e32 v13, v106, v98
	v_fmac_f32_e32 v106, -0.5, v14
	v_sub_f32_e32 v14, v97, v115
	v_mov_b32_e32 v17, v106
	v_add_f32_e32 v13, v13, v100
	v_fmac_f32_e32 v17, 0x3f5db3d7, v14
	v_fmac_f32_e32 v106, 0xbf5db3d7, v14
	v_add_f32_e32 v14, v99, v101
	ds_write_b32 v53, v13
	ds_write_b32 v53, v17 offset:1800
	ds_write_b32 v53, v106 offset:3600
	v_add_f32_e32 v13, v112, v99
	v_fmac_f32_e32 v112, -0.5, v14
	v_add_f32_e32 v13, v13, v101
	v_sub_f32_e32 v14, v117, v122
	v_mov_b32_e32 v17, v112
	v_fmac_f32_e32 v17, 0x3f5db3d7, v14
	v_fmac_f32_e32 v112, 0xbf5db3d7, v14
	ds_write_b32 v15, v13
	ds_write_b32 v15, v17 offset:1800
	ds_write_b32 v15, v112 offset:3600
	v_add_f32_e32 v13, v111, v102
	v_add_f32_e32 v14, v107, v103
	;; [unrolled: 1-line block ×4, first 2 shown]
	ds_write2_b32 v19, v13, v14 offset0:32 offset1:167
	v_add_f32_e32 v14, v103, v78
	v_add_f32_e32 v13, v102, v104
	v_fmac_f32_e32 v107, -0.5, v14
	v_fmac_f32_e32 v111, -0.5, v13
	v_sub_f32_e32 v14, v125, v126
	v_mov_b32_e32 v17, v107
	v_sub_f32_e32 v13, v123, v124
	v_mov_b32_e32 v15, v111
	v_fmac_f32_e32 v17, 0x3f5db3d7, v14
	v_fmac_f32_e32 v107, 0xbf5db3d7, v14
	v_add_f32_e32 v14, v80, v82
	v_fmac_f32_e32 v15, 0x3f5db3d7, v13
	v_fmac_f32_e32 v111, 0xbf5db3d7, v13
	v_add_f32_e32 v13, v113, v80
	v_fmac_f32_e32 v113, -0.5, v14
	ds_write2_b32 v127, v15, v17 offset0:98 offset1:233
	v_add_f32_e32 v13, v13, v82
	v_sub_f32_e32 v14, v79, v81
	v_mov_b32_e32 v15, v113
	ds_write2_b32 v16, v111, v107 offset0:36 offset1:171
	v_fmac_f32_e32 v15, 0x3f5db3d7, v14
	v_fmac_f32_e32 v113, 0xbf5db3d7, v14
	ds_write_b32 v2, v13
	ds_write_b32 v2, v15 offset:1800
	ds_write_b32 v2, v113 offset:3600
	v_add_f32_e32 v13, v84, v86
	v_add_f32_e32 v2, v108, v84
	v_fmac_f32_e32 v108, -0.5, v13
	v_sub_f32_e32 v13, v83, v85
	v_mov_b32_e32 v14, v108
	v_add_f32_e32 v15, v88, v90
	v_fmac_f32_e32 v14, 0x3f5db3d7, v13
	v_fmac_f32_e32 v108, 0xbf5db3d7, v13
	v_add_f32_e32 v13, v109, v88
	v_fmac_f32_e32 v109, -0.5, v15
	v_sub_f32_e32 v15, v87, v89
	v_mov_b32_e32 v16, v109
	v_add_f32_e32 v17, v92, v94
	v_fmac_f32_e32 v16, 0x3f5db3d7, v15
	v_fmac_f32_e32 v109, 0xbf5db3d7, v15
	v_add_f32_e32 v15, v110, v92
	v_fmac_f32_e32 v110, -0.5, v17
	v_add_f32_e32 v2, v2, v86
	v_sub_f32_e32 v17, v91, v93
	v_mov_b32_e32 v19, v110
	s_movk_i32 s0, 0x2000
	v_add_f32_e32 v13, v13, v90
	v_add_f32_e32 v15, v15, v94
	v_fmac_f32_e32 v19, 0x3f5db3d7, v17
	v_fmac_f32_e32 v110, 0xbf5db3d7, v17
	ds_write_b32 v114, v2 offset:10800
	ds_write_b32 v114, v14 offset:12600
	;; [unrolled: 1-line block ×9, first 2 shown]
	s_waitcnt lgkmcnt(0)
	s_barrier
	s_and_saveexec_b64 s[4:5], vcc
	s_cbranch_execz .LBB0_15
; %bb.14:
	v_lshlrev_b32_e32 v2, 1, v66
	v_lshlrev_b64 v[13:14], 3, v[2:3]
	v_mov_b32_e32 v90, s9
	v_add_co_u32_e32 v2, vcc, s8, v13
	v_addc_co_u32_e32 v14, vcc, v90, v14, vcc
	v_add_co_u32_e32 v13, vcc, 0x2000, v2
	v_lshlrev_b32_e32 v2, 1, v71
	v_lshlrev_b64 v[53:54], 3, v[2:3]
	v_addc_co_u32_e32 v14, vcc, 0, v14, vcc
	v_add_co_u32_e32 v2, vcc, s8, v53
	v_addc_co_u32_e32 v17, vcc, v90, v54, vcc
	v_add_co_u32_e32 v53, vcc, s0, v2
	global_load_dwordx4 v[13:16], v[13:14], off offset:2528
	v_addc_co_u32_e32 v54, vcc, 0, v17, vcc
	global_load_dwordx4 v[78:81], v[53:54], off offset:2528
	v_lshlrev_b32_e32 v2, 1, v68
	v_lshlrev_b64 v[53:54], 3, v[2:3]
	v_mul_i32_i24_e32 v91, 0xffffffdc, v67
	v_add_co_u32_e32 v2, vcc, s8, v53
	v_addc_co_u32_e32 v17, vcc, v90, v54, vcc
	v_add_co_u32_e32 v53, vcc, s0, v2
	v_addc_co_u32_e32 v54, vcc, 0, v17, vcc
	global_load_dwordx4 v[82:85], v[53:54], off offset:2528
	v_lshlrev_b32_e32 v2, 1, v64
	ds_read2_b32 v[53:54], v27 offset0:62 offset1:197
	ds_read2_b32 v[66:67], v59 offset0:68 offset1:203
	ds_read_b32 v17, v26
	ds_read_b32 v19, v25
	;; [unrolled: 1-line block ×3, first 2 shown]
	v_lshlrev_b64 v[24:25], 3, v[2:3]
	v_mul_i32_i24_e32 v92, 0xffffffdc, v70
	v_add_co_u32_e32 v2, vcc, s8, v24
	v_addc_co_u32_e32 v25, vcc, v90, v25, vcc
	v_add_co_u32_e32 v24, vcc, s0, v2
	v_addc_co_u32_e32 v25, vcc, 0, v25, vcc
	global_load_dwordx4 v[86:89], v[24:25], off offset:2528
	ds_read2_b32 v[70:71], v22 offset0:54 offset1:189
	ds_read_b32 v93, v52
	s_waitcnt vmcnt(3)
	v_mul_f32_e32 v2, v9, v14
	v_mul_f32_e32 v24, v11, v16
	s_waitcnt lgkmcnt(6)
	v_mul_f32_e32 v14, v54, v14
	s_waitcnt lgkmcnt(5)
	v_mul_f32_e32 v16, v67, v16
	s_waitcnt vmcnt(2)
	v_mul_f32_e32 v64, v66, v81
	v_fmac_f32_e32 v14, v9, v13
	v_fmac_f32_e32 v16, v11, v15
	v_mul_f32_e32 v27, v10, v81
	v_mul_f32_e32 v59, v53, v79
	v_fma_f32 v2, v13, v54, -v2
	v_fma_f32 v24, v15, v67, -v24
	v_fmac_f32_e32 v64, v10, v80
	v_add_f32_e32 v10, v14, v16
	v_mul_f32_e32 v25, v8, v79
	v_fmac_f32_e32 v59, v8, v78
	v_add_f32_e32 v8, v2, v24
	v_fma_f32 v10, -0.5, v10, v12
	s_waitcnt lgkmcnt(4)
	v_add_f32_e32 v9, v17, v2
	v_sub_f32_e32 v2, v2, v24
	v_fma_f32 v11, -0.5, v8, v17
	v_mov_b32_e32 v8, v10
	v_fma_f32 v25, v78, v53, -v25
	v_fma_f32 v27, v80, v66, -v27
	v_sub_f32_e32 v53, v14, v16
	v_add_f32_e32 v14, v12, v14
	v_fmac_f32_e32 v10, 0xbf5db3d7, v2
	v_fmac_f32_e32 v8, 0x3f5db3d7, v2
	v_add_f32_e32 v2, v59, v64
	v_add_f32_e32 v15, v25, v27
	;; [unrolled: 1-line block ×3, first 2 shown]
	v_fma_f32 v16, -0.5, v2, v18
	s_waitcnt lgkmcnt(3)
	v_fma_f32 v17, -0.5, v15, v19
	v_sub_f32_e32 v2, v25, v27
	v_mov_b32_e32 v14, v16
	v_sub_f32_e32 v54, v59, v64
	v_add_f32_e32 v13, v9, v24
	v_mov_b32_e32 v9, v11
	v_mov_b32_e32 v15, v17
	v_fmac_f32_e32 v14, 0x3f5db3d7, v2
	v_fmac_f32_e32 v16, 0xbf5db3d7, v2
	v_lshlrev_b32_e32 v2, 1, v69
	v_fmac_f32_e32 v11, 0x3f5db3d7, v53
	v_fmac_f32_e32 v17, 0x3f5db3d7, v54
	;; [unrolled: 1-line block ×4, first 2 shown]
	ds_read2_b32 v[53:54], v23 offset0:112 offset1:247
	v_lshlrev_b64 v[23:24], 3, v[2:3]
	v_add_f32_e32 v66, v19, v25
	v_add_co_u32_e32 v2, vcc, s8, v23
	v_addc_co_u32_e32 v24, vcc, v90, v24, vcc
	v_add_co_u32_e32 v23, vcc, s0, v2
	v_addc_co_u32_e32 v24, vcc, 0, v24, vcc
	s_waitcnt vmcnt(1)
	v_mul_f32_e32 v2, v43, v83
	v_add_f32_e32 v19, v66, v27
	global_load_dwordx4 v[66:69], v[23:24], off offset:2528
	s_waitcnt lgkmcnt(0)
	v_fma_f32 v22, v82, v54, -v2
	v_mul_f32_e32 v2, v41, v85
	v_add_f32_e32 v18, v18, v59
	v_fma_f32 v59, v84, v71, -v2
	v_mul_f32_e32 v52, v54, v83
	v_add_f32_e32 v2, v22, v59
	v_fmac_f32_e32 v52, v43, v82
	v_mul_f32_e32 v43, v71, v85
	v_fma_f32 v25, -0.5, v2, v26
	v_fmac_f32_e32 v43, v41, v84
	v_sub_f32_e32 v2, v52, v43
	v_mov_b32_e32 v23, v25
	v_fmac_f32_e32 v23, 0xbf5db3d7, v2
	v_fmac_f32_e32 v25, 0x3f5db3d7, v2
	v_lshlrev_b32_e32 v2, 1, v65
	v_add_f32_e32 v24, v26, v22
	v_lshlrev_b64 v[26:27], 3, v[2:3]
	v_add_f32_e32 v18, v18, v64
	v_add_co_u32_e32 v2, vcc, s8, v26
	v_addc_co_u32_e32 v27, vcc, v90, v27, vcc
	v_add_co_u32_e32 v26, vcc, s0, v2
	v_addc_co_u32_e32 v27, vcc, 0, v27, vcc
	global_load_dwordx4 v[78:81], v[26:27], off offset:2528
	v_add_f32_e32 v2, v52, v43
	v_add_f32_e32 v27, v24, v59
	v_fma_f32 v24, -0.5, v2, v77
	v_sub_f32_e32 v2, v22, v59
	v_mov_b32_e32 v22, v24
	v_fmac_f32_e32 v22, 0x3f5db3d7, v2
	v_fmac_f32_e32 v24, 0xbf5db3d7, v2
	v_add_f32_e32 v2, v77, v52
	ds_read_b32 v52, v50
	v_add_f32_e32 v26, v2, v43
	s_waitcnt vmcnt(2)
	v_mul_f32_e32 v2, v42, v87
	v_fma_f32 v54, v86, v53, -v2
	v_mul_f32_e32 v2, v40, v89
	v_fma_f32 v59, v88, v70, -v2
	v_add_f32_e32 v2, v54, v59
	s_waitcnt lgkmcnt(0)
	v_fma_f32 v43, -0.5, v2, v52
	v_lshlrev_b32_e32 v2, 1, v63
	v_lshlrev_b64 v[2:3], 3, v[2:3]
	ds_read_b32 v77, v51
	ds_read_b32 v82, v49
	;; [unrolled: 1-line block ×3, first 2 shown]
	v_add_co_u32_e32 v2, vcc, s8, v2
	v_addc_co_u32_e32 v3, vcc, v90, v3, vcc
	v_add_co_u32_e32 v2, vcc, s0, v2
	v_addc_co_u32_e32 v3, vcc, 0, v3, vcc
	global_load_dwordx4 v[48:51], v[2:3], off offset:2528
	ds_read2_b32 v[63:64], v55 offset0:98 offset1:233
	v_mul_f32_e32 v65, v70, v89
	ds_read2_b32 v[70:71], v57 offset0:40 offset1:175
	v_mul_f32_e32 v53, v53, v87
	v_fmac_f32_e32 v53, v42, v86
	v_fmac_f32_e32 v65, v40, v88
	v_add_f32_e32 v2, v52, v54
	v_add_f32_e32 v3, v2, v59
	;; [unrolled: 1-line block ×3, first 2 shown]
	v_sub_f32_e32 v40, v53, v65
	v_mov_b32_e32 v41, v43
	v_fma_f32 v42, -0.5, v2, v76
	v_fmac_f32_e32 v41, 0xbf5db3d7, v40
	v_fmac_f32_e32 v43, 0x3f5db3d7, v40
	v_sub_f32_e32 v2, v54, v59
	v_mov_b32_e32 v40, v42
	v_add_co_u32_e32 v6, vcc, s0, v6
	v_fmac_f32_e32 v40, 0x3f5db3d7, v2
	v_fmac_f32_e32 v42, 0xbf5db3d7, v2
	v_add_f32_e32 v2, v76, v53
	v_addc_co_u32_e32 v7, vcc, 0, v7, vcc
	v_add_f32_e32 v2, v2, v65
	s_waitcnt vmcnt(2)
	v_mul_f32_e32 v52, v39, v67
	s_waitcnt lgkmcnt(1)
	v_fma_f32 v57, v66, v64, -v52
	v_mul_f32_e32 v52, v37, v69
	s_waitcnt lgkmcnt(0)
	v_fma_f32 v59, v68, v71, -v52
	v_add_f32_e32 v52, v57, v59
	v_fma_f32 v65, -0.5, v52, v93
	v_mul_f32_e32 v76, v64, v67
	global_load_dwordx4 v[52:55], v[6:7], off offset:2528
	v_mul_f32_e32 v6, v71, v69
	v_fmac_f32_e32 v76, v39, v66
	v_fmac_f32_e32 v6, v37, v68
	v_sub_f32_e32 v7, v76, v6
	v_mov_b32_e32 v67, v65
	v_fmac_f32_e32 v67, 0xbf5db3d7, v7
	v_fmac_f32_e32 v65, 0x3f5db3d7, v7
	v_add_f32_e32 v7, v93, v57
	v_add_f32_e32 v69, v7, v59
	;; [unrolled: 1-line block ×3, first 2 shown]
	v_fma_f32 v64, -0.5, v7, v75
	v_sub_f32_e32 v7, v57, v59
	v_mov_b32_e32 v66, v64
	v_fmac_f32_e32 v66, 0x3f5db3d7, v7
	v_fmac_f32_e32 v64, 0xbf5db3d7, v7
	v_add_f32_e32 v7, v75, v76
	v_add_f32_e32 v68, v7, v6
	v_add_co_u32_e32 v4, vcc, s0, v4
	s_waitcnt vmcnt(2)
	v_mul_f32_e32 v6, v38, v79
	v_fma_f32 v37, v78, v63, -v6
	v_mul_f32_e32 v6, v36, v81
	v_fma_f32 v39, v80, v70, -v6
	v_add_f32_e32 v6, v37, v39
	v_addc_co_u32_e32 v5, vcc, 0, v5, vcc
	v_fma_f32 v71, -0.5, v6, v77
	global_load_dwordx4 v[4:7], v[4:5], off offset:2528
	v_mul_f32_e32 v57, v63, v79
	v_mul_f32_e32 v59, v70, v81
	v_fmac_f32_e32 v57, v38, v78
	v_fmac_f32_e32 v59, v36, v80
	v_sub_f32_e32 v36, v57, v59
	v_mov_b32_e32 v76, v71
	v_fmac_f32_e32 v76, 0xbf5db3d7, v36
	v_fmac_f32_e32 v71, 0x3f5db3d7, v36
	v_add_f32_e32 v36, v77, v37
	v_add_f32_e32 v78, v36, v39
	;; [unrolled: 1-line block ×3, first 2 shown]
	v_fma_f32 v70, -0.5, v36, v74
	v_add_co_u32_e32 v0, vcc, s0, v0
	v_sub_f32_e32 v36, v37, v39
	v_mov_b32_e32 v75, v70
	v_addc_co_u32_e32 v1, vcc, 0, v1, vcc
	v_fmac_f32_e32 v75, 0x3f5db3d7, v36
	v_fmac_f32_e32 v70, 0xbf5db3d7, v36
	ds_read2_b32 v[79:80], v46 offset0:84 offset1:219
	ds_read2_b32 v[46:47], v47 offset0:26 offset1:161
	global_load_dwordx4 v[36:39], v[0:1], off offset:2528
	s_waitcnt vmcnt(3)
	v_mul_f32_e32 v0, v35, v49
	v_mul_f32_e32 v1, v33, v51
	v_add_f32_e32 v57, v74, v57
	s_waitcnt lgkmcnt(1)
	v_fma_f32 v0, v48, v80, -v0
	s_waitcnt lgkmcnt(0)
	v_fma_f32 v1, v50, v47, -v1
	v_mul_f32_e32 v49, v80, v49
	v_add_f32_e32 v77, v57, v59
	v_add_f32_e32 v57, v0, v1
	v_fmac_f32_e32 v49, v35, v48
	v_mul_f32_e32 v35, v47, v51
	v_fma_f32 v81, -0.5, v57, v82
	v_fmac_f32_e32 v35, v33, v50
	v_sub_f32_e32 v33, v49, v35
	v_mov_b32_e32 v48, v81
	v_fmac_f32_e32 v48, 0xbf5db3d7, v33
	v_fmac_f32_e32 v81, 0x3f5db3d7, v33
	v_add_f32_e32 v33, v82, v0
	v_add_f32_e32 v50, v33, v1
	;; [unrolled: 1-line block ×3, first 2 shown]
	v_fma_f32 v80, -0.5, v33, v73
	v_sub_f32_e32 v0, v0, v1
	v_mov_b32_e32 v47, v80
	v_fmac_f32_e32 v47, 0x3f5db3d7, v0
	v_fmac_f32_e32 v80, 0xbf5db3d7, v0
	v_add_f32_e32 v0, v73, v49
	v_add_f32_e32 v49, v0, v35
	v_add_u32_e32 v0, v56, v92
	ds_read_b32 v0, v0
	s_waitcnt vmcnt(2)
	v_mul_f32_e32 v1, v34, v53
	v_mul_f32_e32 v33, v32, v55
	v_fma_f32 v1, v52, v79, -v1
	v_fma_f32 v51, v54, v46, -v33
	v_add_f32_e32 v33, v1, v51
	v_mul_f32_e32 v53, v79, v53
	v_mul_f32_e32 v46, v46, v55
	s_waitcnt lgkmcnt(0)
	v_fma_f32 v33, -0.5, v33, v0
	v_fmac_f32_e32 v53, v34, v52
	v_fmac_f32_e32 v46, v32, v54
	v_add_f32_e32 v0, v0, v1
	v_sub_f32_e32 v32, v53, v46
	v_mov_b32_e32 v35, v33
	v_add_f32_e32 v52, v0, v51
	v_add_f32_e32 v0, v53, v46
	v_fmac_f32_e32 v35, 0xbf5db3d7, v32
	v_fmac_f32_e32 v33, 0x3f5db3d7, v32
	v_fma_f32 v32, -0.5, v0, v72
	v_sub_f32_e32 v0, v1, v51
	v_mov_b32_e32 v34, v32
	v_fmac_f32_e32 v34, 0x3f5db3d7, v0
	v_fmac_f32_e32 v32, 0xbf5db3d7, v0
	v_add_f32_e32 v0, v72, v53
	v_add_f32_e32 v51, v0, v46
	ds_read2_b32 v[0:1], v44 offset0:70 offset1:205
	v_add_u32_e32 v46, v58, v91
	ds_read2_b32 v[44:45], v45 offset0:12 offset1:147
	ds_read_b32 v53, v46
	s_waitcnt vmcnt(1)
	v_mul_f32_e32 v46, v31, v5
	s_waitcnt lgkmcnt(2)
	v_fma_f32 v54, v4, v1, -v46
	v_mul_f32_e32 v46, v29, v7
	s_waitcnt lgkmcnt(1)
	v_fma_f32 v55, v6, v45, -v46
	v_mul_f32_e32 v1, v1, v5
	v_add_f32_e32 v46, v54, v55
	v_fmac_f32_e32 v1, v31, v4
	v_mul_f32_e32 v31, v45, v7
	s_waitcnt lgkmcnt(0)
	v_fma_f32 v46, -0.5, v46, v53
	v_fmac_f32_e32 v31, v29, v6
	v_sub_f32_e32 v4, v1, v31
	v_mov_b32_e32 v5, v46
	v_fmac_f32_e32 v5, 0xbf5db3d7, v4
	v_fmac_f32_e32 v46, 0x3f5db3d7, v4
	v_add_f32_e32 v4, v53, v54
	v_add_f32_e32 v7, v4, v55
	v_add_f32_e32 v4, v1, v31
	v_fma_f32 v45, -0.5, v4, v61
	v_sub_f32_e32 v6, v54, v55
	v_mov_b32_e32 v4, v45
	v_add_f32_e32 v1, v61, v1
	v_fmac_f32_e32 v4, 0x3f5db3d7, v6
	v_fmac_f32_e32 v45, 0xbf5db3d7, v6
	v_add_f32_e32 v6, v1, v31
	s_waitcnt vmcnt(0)
	v_mul_f32_e32 v1, v30, v37
	v_mul_f32_e32 v29, v28, v39
	v_fma_f32 v1, v36, v0, -v1
	v_fma_f32 v53, v38, v44, -v29
	v_mul_f32_e32 v54, v0, v37
	v_add_f32_e32 v29, v1, v53
	v_fmac_f32_e32 v54, v30, v36
	v_mul_f32_e32 v36, v44, v39
	v_fma_f32 v29, -0.5, v29, v83
	v_fmac_f32_e32 v36, v28, v38
	v_mad_u64_u32 v[38:39], s[0:1], s2, v62, 0
	v_sub_f32_e32 v0, v54, v36
	v_mov_b32_e32 v31, v29
	v_fmac_f32_e32 v31, 0xbf5db3d7, v0
	v_fmac_f32_e32 v29, 0x3f5db3d7, v0
	v_add_f32_e32 v0, v83, v1
	v_add_f32_e32 v37, v0, v53
	;; [unrolled: 1-line block ×3, first 2 shown]
	v_fma_f32 v28, -0.5, v0, v60
	v_mov_b32_e32 v0, v39
	v_sub_f32_e32 v44, v1, v53
	v_mad_u64_u32 v[0:1], s[0:1], s3, v62, v[0:1]
	v_mov_b32_e32 v30, v28
	v_add_f32_e32 v1, v60, v54
	v_fmac_f32_e32 v30, 0x3f5db3d7, v44
	v_fmac_f32_e32 v28, 0xbf5db3d7, v44
	v_add_f32_e32 v36, v1, v36
	v_mov_b32_e32 v39, v0
	v_mov_b32_e32 v1, s13
	v_add_co_u32_e32 v0, vcc, s12, v20
	v_add_u32_e32 v44, 0x546, v62
	v_addc_co_u32_e32 v1, vcc, v1, v21, vcc
	v_lshlrev_b64 v[20:21], 3, v[38:39]
	v_mad_u64_u32 v[38:39], s[0:1], s2, v44, 0
	v_add_co_u32_e32 v20, vcc, v0, v20
	v_mad_u64_u32 v[53:54], s[0:1], s3, v44, v[39:40]
	v_add_u32_e32 v44, 0xa8c, v62
	v_mad_u64_u32 v[54:55], s[0:1], s2, v44, 0
	v_addc_co_u32_e32 v21, vcc, v1, v21, vcc
	global_store_dwordx2 v[20:21], v[36:37], off
	v_mov_b32_e32 v36, v55
	v_mov_b32_e32 v39, v53
	v_mad_u64_u32 v[36:37], s[0:1], s3, v44, v[36:37]
	v_lshlrev_b64 v[20:21], 3, v[38:39]
	v_add_u32_e32 v39, 0x5cd, v62
	v_add_co_u32_e32 v20, vcc, v0, v20
	v_addc_co_u32_e32 v21, vcc, v1, v21, vcc
	v_mov_b32_e32 v55, v36
	v_add_u32_e32 v36, 0x87, v62
	global_store_dwordx2 v[20:21], v[28:29], off
	v_mad_u64_u32 v[28:29], s[4:5], s2, v36, 0
	v_lshlrev_b64 v[20:21], 3, v[54:55]
	s_mov_b32 s1, 0xc22e4507
	v_mad_u64_u32 v[36:37], s[4:5], s3, v36, v[29:30]
	v_mad_u64_u32 v[37:38], s[4:5], s2, v39, 0
	v_add_co_u32_e32 v20, vcc, v0, v20
	v_addc_co_u32_e32 v21, vcc, v1, v21, vcc
	v_mov_b32_e32 v29, v36
	global_store_dwordx2 v[20:21], v[30:31], off
	v_lshlrev_b64 v[20:21], 3, v[28:29]
	v_mov_b32_e32 v28, v38
	v_mad_u64_u32 v[28:29], s[4:5], s3, v39, v[28:29]
	v_add_co_u32_e32 v20, vcc, v0, v20
	v_addc_co_u32_e32 v21, vcc, v1, v21, vcc
	v_mov_b32_e32 v38, v28
	v_add_u32_e32 v28, 0xb13, v62
	global_store_dwordx2 v[20:21], v[6:7], off
	v_mad_u64_u32 v[20:21], s[4:5], s2, v28, 0
	v_add_u32_e32 v31, 0x10e, v62
	v_lshlrev_b64 v[6:7], 3, v[37:38]
	v_mad_u64_u32 v[28:29], s[4:5], s3, v28, v[21:22]
	v_mad_u64_u32 v[29:30], s[4:5], s2, v31, 0
	v_add_co_u32_e32 v6, vcc, v0, v6
	v_addc_co_u32_e32 v7, vcc, v1, v7, vcc
	v_mov_b32_e32 v21, v28
	global_store_dwordx2 v[6:7], v[45:46], off
	v_lshlrev_b64 v[6:7], 3, v[20:21]
	v_mov_b32_e32 v20, v30
	v_mad_u64_u32 v[20:21], s[4:5], s3, v31, v[20:21]
	v_add_co_u32_e32 v6, vcc, v0, v6
	v_addc_co_u32_e32 v7, vcc, v1, v7, vcc
	v_mov_b32_e32 v30, v20
	v_add_u32_e32 v20, 0x654, v62
	global_store_dwordx2 v[6:7], v[4:5], off
	v_mad_u64_u32 v[6:7], s[4:5], s2, v20, 0
	v_lshlrev_b64 v[4:5], 3, v[29:30]
	s_movk_i32 s0, 0xa8c
	v_mad_u64_u32 v[20:21], s[4:5], s3, v20, v[7:8]
	v_add_u32_e32 v21, 0xb9a, v62
	v_mad_u64_u32 v[28:29], s[4:5], s2, v21, 0
	v_add_co_u32_e32 v4, vcc, v0, v4
	v_addc_co_u32_e32 v5, vcc, v1, v5, vcc
	v_mov_b32_e32 v7, v20
	global_store_dwordx2 v[4:5], v[51:52], off
	v_lshlrev_b64 v[4:5], 3, v[6:7]
	v_mov_b32_e32 v6, v29
	v_mad_u64_u32 v[6:7], s[4:5], s3, v21, v[6:7]
	v_add_u32_e32 v20, 0x195, v62
	v_add_co_u32_e32 v4, vcc, v0, v4
	v_mov_b32_e32 v29, v6
	v_mad_u64_u32 v[6:7], s[4:5], s2, v20, 0
	v_addc_co_u32_e32 v5, vcc, v1, v5, vcc
	v_mad_u64_u32 v[20:21], s[4:5], s3, v20, v[7:8]
	v_add_u32_e32 v21, 0x6db, v62
	global_store_dwordx2 v[4:5], v[32:33], off
	v_lshlrev_b64 v[4:5], 3, v[28:29]
	v_mad_u64_u32 v[28:29], s[4:5], s2, v21, 0
	v_add_co_u32_e32 v4, vcc, v0, v4
	v_addc_co_u32_e32 v5, vcc, v1, v5, vcc
	v_mov_b32_e32 v7, v20
	global_store_dwordx2 v[4:5], v[34:35], off
	v_lshlrev_b64 v[4:5], 3, v[6:7]
	v_mov_b32_e32 v6, v29
	v_mad_u64_u32 v[6:7], s[4:5], s3, v21, v[6:7]
	v_add_u32_e32 v20, 0xc21, v62
	v_add_co_u32_e32 v4, vcc, v0, v4
	v_mov_b32_e32 v29, v6
	v_mad_u64_u32 v[6:7], s[4:5], s2, v20, 0
	v_addc_co_u32_e32 v5, vcc, v1, v5, vcc
	v_mad_u64_u32 v[20:21], s[4:5], s3, v20, v[7:8]
	v_add_u32_e32 v21, 0x21c, v62
	global_store_dwordx2 v[4:5], v[49:50], off
	v_lshlrev_b64 v[4:5], 3, v[28:29]
	;; [unrolled: 17-line block ×5, first 2 shown]
	v_mul_hi_u32 v28, v21, s1
	v_add_co_u32_e32 v4, vcc, v0, v4
	v_addc_co_u32_e32 v5, vcc, v1, v5, vcc
	v_mov_b32_e32 v7, v20
	global_store_dwordx2 v[4:5], v[64:65], off
	v_lshlrev_b64 v[4:5], 3, v[6:7]
	v_lshrrev_b32_e32 v6, 10, v28
	v_mad_u32_u24 v30, v6, s0, v21
	v_mad_u64_u32 v[6:7], s[4:5], s2, v30, 0
	v_add_co_u32_e32 v4, vcc, v0, v4
	v_mad_u64_u32 v[20:21], s[4:5], s3, v30, v[7:8]
	v_add_u32_e32 v21, 0x546, v30
	v_mad_u64_u32 v[28:29], s[4:5], s2, v21, 0
	v_addc_co_u32_e32 v5, vcc, v1, v5, vcc
	v_mov_b32_e32 v7, v20
	global_store_dwordx2 v[4:5], v[66:67], off
	v_lshlrev_b64 v[4:5], 3, v[6:7]
	v_mov_b32_e32 v6, v29
	v_mad_u64_u32 v[6:7], s[4:5], s3, v21, v[6:7]
	v_add_co_u32_e32 v4, vcc, v0, v4
	v_addc_co_u32_e32 v5, vcc, v1, v5, vcc
	v_mov_b32_e32 v29, v6
	v_add_u32_e32 v6, 0xa8c, v30
	global_store_dwordx2 v[4:5], v[2:3], off
	v_mad_u64_u32 v[4:5], s[4:5], s2, v6, 0
	v_lshlrev_b64 v[2:3], 3, v[28:29]
	v_mad_u64_u32 v[5:6], s[4:5], s3, v6, v[5:6]
	v_add_u32_e32 v6, 0x3b1, v62
	v_mul_hi_u32 v7, v6, s1
	v_add_co_u32_e32 v2, vcc, v0, v2
	v_addc_co_u32_e32 v3, vcc, v1, v3, vcc
	global_store_dwordx2 v[2:3], v[42:43], off
	v_lshlrev_b64 v[2:3], 3, v[4:5]
	v_lshrrev_b32_e32 v4, 10, v7
	v_mad_u32_u24 v20, v4, s0, v6
	v_mad_u64_u32 v[4:5], s[4:5], s2, v20, 0
	v_add_u32_e32 v21, 0x546, v20
	v_add_co_u32_e32 v2, vcc, v0, v2
	v_mad_u64_u32 v[5:6], s[4:5], s3, v20, v[5:6]
	v_mad_u64_u32 v[6:7], s[4:5], s2, v21, 0
	v_addc_co_u32_e32 v3, vcc, v1, v3, vcc
	global_store_dwordx2 v[2:3], v[40:41], off
	v_lshlrev_b64 v[2:3], 3, v[4:5]
	v_mov_b32_e32 v4, v7
	v_mad_u64_u32 v[4:5], s[4:5], s3, v21, v[4:5]
	v_add_co_u32_e32 v2, vcc, v0, v2
	v_addc_co_u32_e32 v3, vcc, v1, v3, vcc
	v_mov_b32_e32 v7, v4
	global_store_dwordx2 v[2:3], v[26:27], off
	v_lshlrev_b64 v[2:3], 3, v[6:7]
	v_add_u32_e32 v6, 0xa8c, v20
	v_mad_u64_u32 v[4:5], s[4:5], s2, v6, 0
	v_add_co_u32_e32 v2, vcc, v0, v2
	v_mad_u64_u32 v[5:6], s[4:5], s3, v6, v[5:6]
	v_add_u32_e32 v6, 0x438, v62
	v_mul_hi_u32 v7, v6, s1
	v_addc_co_u32_e32 v3, vcc, v1, v3, vcc
	global_store_dwordx2 v[2:3], v[24:25], off
	v_lshlrev_b64 v[2:3], 3, v[4:5]
	v_lshrrev_b32_e32 v4, 10, v7
	v_mad_u32_u24 v20, v4, s0, v6
	v_mad_u64_u32 v[4:5], s[4:5], s2, v20, 0
	v_add_u32_e32 v21, 0x546, v20
	v_add_co_u32_e32 v2, vcc, v0, v2
	v_mad_u64_u32 v[5:6], s[4:5], s3, v20, v[5:6]
	v_mad_u64_u32 v[6:7], s[4:5], s2, v21, 0
	v_addc_co_u32_e32 v3, vcc, v1, v3, vcc
	global_store_dwordx2 v[2:3], v[22:23], off
	v_lshlrev_b64 v[2:3], 3, v[4:5]
	v_mov_b32_e32 v4, v7
	v_mad_u64_u32 v[4:5], s[4:5], s3, v21, v[4:5]
	v_add_co_u32_e32 v2, vcc, v0, v2
	v_addc_co_u32_e32 v3, vcc, v1, v3, vcc
	v_mov_b32_e32 v7, v4
	global_store_dwordx2 v[2:3], v[18:19], off
	v_lshlrev_b64 v[2:3], 3, v[6:7]
	v_add_u32_e32 v6, 0xa8c, v20
	v_mad_u64_u32 v[4:5], s[4:5], s2, v6, 0
	v_add_u32_e32 v7, 0x4bf, v62
	v_mul_hi_u32 v18, v7, s1
	v_mad_u64_u32 v[5:6], s[4:5], s3, v6, v[5:6]
	v_add_co_u32_e32 v2, vcc, v0, v2
	v_lshrrev_b32_e32 v6, 10, v18
	v_mad_u32_u24 v18, v6, s0, v7
	v_mad_u64_u32 v[6:7], s[0:1], s2, v18, 0
	v_addc_co_u32_e32 v3, vcc, v1, v3, vcc
	global_store_dwordx2 v[2:3], v[16:17], off
	v_lshlrev_b64 v[2:3], 3, v[4:5]
	v_mov_b32_e32 v4, v7
	v_mad_u64_u32 v[4:5], s[0:1], s3, v18, v[4:5]
	v_add_co_u32_e32 v2, vcc, v0, v2
	v_addc_co_u32_e32 v3, vcc, v1, v3, vcc
	v_mov_b32_e32 v7, v4
	global_store_dwordx2 v[2:3], v[14:15], off
	v_lshlrev_b64 v[2:3], 3, v[6:7]
	v_add_u32_e32 v6, 0x546, v18
	v_mad_u64_u32 v[4:5], s[0:1], s2, v6, 0
	v_add_u32_e32 v14, 0xa8c, v18
	v_add_co_u32_e32 v2, vcc, v0, v2
	v_mad_u64_u32 v[5:6], s[0:1], s3, v6, v[5:6]
	v_mad_u64_u32 v[6:7], s[0:1], s2, v14, 0
	v_addc_co_u32_e32 v3, vcc, v1, v3, vcc
	global_store_dwordx2 v[2:3], v[12:13], off
	v_lshlrev_b64 v[2:3], 3, v[4:5]
	v_mov_b32_e32 v4, v7
	v_mad_u64_u32 v[4:5], s[0:1], s3, v14, v[4:5]
	v_add_co_u32_e32 v2, vcc, v0, v2
	v_addc_co_u32_e32 v3, vcc, v1, v3, vcc
	v_mov_b32_e32 v7, v4
	global_store_dwordx2 v[2:3], v[10:11], off
	v_lshlrev_b64 v[2:3], 3, v[6:7]
	v_add_co_u32_e32 v0, vcc, v0, v2
	v_addc_co_u32_e32 v1, vcc, v1, v3, vcc
	global_store_dwordx2 v[0:1], v[8:9], off
.LBB0_15:
	s_endpgm
	.section	.rodata,"a",@progbits
	.p2align	6, 0x0
	.amdhsa_kernel fft_rtc_back_len4050_factors_10_5_3_3_3_3_wgs_135_tpt_135_halfLds_sp_ip_CI_sbrr_dirReg
		.amdhsa_group_segment_fixed_size 0
		.amdhsa_private_segment_fixed_size 0
		.amdhsa_kernarg_size 88
		.amdhsa_user_sgpr_count 6
		.amdhsa_user_sgpr_private_segment_buffer 1
		.amdhsa_user_sgpr_dispatch_ptr 0
		.amdhsa_user_sgpr_queue_ptr 0
		.amdhsa_user_sgpr_kernarg_segment_ptr 1
		.amdhsa_user_sgpr_dispatch_id 0
		.amdhsa_user_sgpr_flat_scratch_init 0
		.amdhsa_user_sgpr_private_segment_size 0
		.amdhsa_uses_dynamic_stack 0
		.amdhsa_system_sgpr_private_segment_wavefront_offset 0
		.amdhsa_system_sgpr_workgroup_id_x 1
		.amdhsa_system_sgpr_workgroup_id_y 0
		.amdhsa_system_sgpr_workgroup_id_z 0
		.amdhsa_system_sgpr_workgroup_info 0
		.amdhsa_system_vgpr_workitem_id 0
		.amdhsa_next_free_vgpr 151
		.amdhsa_next_free_sgpr 24
		.amdhsa_reserve_vcc 1
		.amdhsa_reserve_flat_scratch 0
		.amdhsa_float_round_mode_32 0
		.amdhsa_float_round_mode_16_64 0
		.amdhsa_float_denorm_mode_32 3
		.amdhsa_float_denorm_mode_16_64 3
		.amdhsa_dx10_clamp 1
		.amdhsa_ieee_mode 1
		.amdhsa_fp16_overflow 0
		.amdhsa_exception_fp_ieee_invalid_op 0
		.amdhsa_exception_fp_denorm_src 0
		.amdhsa_exception_fp_ieee_div_zero 0
		.amdhsa_exception_fp_ieee_overflow 0
		.amdhsa_exception_fp_ieee_underflow 0
		.amdhsa_exception_fp_ieee_inexact 0
		.amdhsa_exception_int_div_zero 0
	.end_amdhsa_kernel
	.text
.Lfunc_end0:
	.size	fft_rtc_back_len4050_factors_10_5_3_3_3_3_wgs_135_tpt_135_halfLds_sp_ip_CI_sbrr_dirReg, .Lfunc_end0-fft_rtc_back_len4050_factors_10_5_3_3_3_3_wgs_135_tpt_135_halfLds_sp_ip_CI_sbrr_dirReg
                                        ; -- End function
	.section	.AMDGPU.csdata,"",@progbits
; Kernel info:
; codeLenInByte = 21188
; NumSgprs: 28
; NumVgprs: 151
; ScratchSize: 0
; MemoryBound: 0
; FloatMode: 240
; IeeeMode: 1
; LDSByteSize: 0 bytes/workgroup (compile time only)
; SGPRBlocks: 3
; VGPRBlocks: 37
; NumSGPRsForWavesPerEU: 28
; NumVGPRsForWavesPerEU: 151
; Occupancy: 1
; WaveLimiterHint : 1
; COMPUTE_PGM_RSRC2:SCRATCH_EN: 0
; COMPUTE_PGM_RSRC2:USER_SGPR: 6
; COMPUTE_PGM_RSRC2:TRAP_HANDLER: 0
; COMPUTE_PGM_RSRC2:TGID_X_EN: 1
; COMPUTE_PGM_RSRC2:TGID_Y_EN: 0
; COMPUTE_PGM_RSRC2:TGID_Z_EN: 0
; COMPUTE_PGM_RSRC2:TIDIG_COMP_CNT: 0
	.type	__hip_cuid_cb56f6490b05a1eb,@object ; @__hip_cuid_cb56f6490b05a1eb
	.section	.bss,"aw",@nobits
	.globl	__hip_cuid_cb56f6490b05a1eb
__hip_cuid_cb56f6490b05a1eb:
	.byte	0                               ; 0x0
	.size	__hip_cuid_cb56f6490b05a1eb, 1

	.ident	"AMD clang version 19.0.0git (https://github.com/RadeonOpenCompute/llvm-project roc-6.4.0 25133 c7fe45cf4b819c5991fe208aaa96edf142730f1d)"
	.section	".note.GNU-stack","",@progbits
	.addrsig
	.addrsig_sym __hip_cuid_cb56f6490b05a1eb
	.amdgpu_metadata
---
amdhsa.kernels:
  - .args:
      - .actual_access:  read_only
        .address_space:  global
        .offset:         0
        .size:           8
        .value_kind:     global_buffer
      - .offset:         8
        .size:           8
        .value_kind:     by_value
      - .actual_access:  read_only
        .address_space:  global
        .offset:         16
        .size:           8
        .value_kind:     global_buffer
      - .actual_access:  read_only
        .address_space:  global
        .offset:         24
        .size:           8
        .value_kind:     global_buffer
      - .offset:         32
        .size:           8
        .value_kind:     by_value
      - .actual_access:  read_only
        .address_space:  global
        .offset:         40
        .size:           8
        .value_kind:     global_buffer
      - .actual_access:  read_only
        .address_space:  global
        .offset:         48
        .size:           8
        .value_kind:     global_buffer
      - .offset:         56
        .size:           4
        .value_kind:     by_value
      - .actual_access:  read_only
        .address_space:  global
        .offset:         64
        .size:           8
        .value_kind:     global_buffer
      - .actual_access:  read_only
        .address_space:  global
        .offset:         72
        .size:           8
        .value_kind:     global_buffer
      - .address_space:  global
        .offset:         80
        .size:           8
        .value_kind:     global_buffer
    .group_segment_fixed_size: 0
    .kernarg_segment_align: 8
    .kernarg_segment_size: 88
    .language:       OpenCL C
    .language_version:
      - 2
      - 0
    .max_flat_workgroup_size: 135
    .name:           fft_rtc_back_len4050_factors_10_5_3_3_3_3_wgs_135_tpt_135_halfLds_sp_ip_CI_sbrr_dirReg
    .private_segment_fixed_size: 0
    .sgpr_count:     28
    .sgpr_spill_count: 0
    .symbol:         fft_rtc_back_len4050_factors_10_5_3_3_3_3_wgs_135_tpt_135_halfLds_sp_ip_CI_sbrr_dirReg.kd
    .uniform_work_group_size: 1
    .uses_dynamic_stack: false
    .vgpr_count:     151
    .vgpr_spill_count: 0
    .wavefront_size: 64
amdhsa.target:   amdgcn-amd-amdhsa--gfx906
amdhsa.version:
  - 1
  - 2
...

	.end_amdgpu_metadata
